;; amdgpu-corpus repo=ROCm/rocFFT kind=compiled arch=gfx1201 opt=O3
	.text
	.amdgcn_target "amdgcn-amd-amdhsa--gfx1201"
	.amdhsa_code_object_version 6
	.protected	bluestein_single_back_len1092_dim1_half_op_CI_CI ; -- Begin function bluestein_single_back_len1092_dim1_half_op_CI_CI
	.globl	bluestein_single_back_len1092_dim1_half_op_CI_CI
	.p2align	8
	.type	bluestein_single_back_len1092_dim1_half_op_CI_CI,@function
bluestein_single_back_len1092_dim1_half_op_CI_CI: ; @bluestein_single_back_len1092_dim1_half_op_CI_CI
; %bb.0:
	s_load_b128 s[8:11], s[0:1], 0x28
	v_mul_u32_u24_e32 v1, 0x4ed, v0
	s_mov_b32 s2, exec_lo
	v_mov_b32_e32 v23, 0
	s_delay_alu instid0(VALU_DEP_2) | instskip(NEXT) | instid1(VALU_DEP_1)
	v_lshrrev_b32_e32 v1, 16, v1
	v_add_nc_u32_e32 v22, ttmp9, v1
	s_wait_kmcnt 0x0
	s_delay_alu instid0(VALU_DEP_1)
	v_cmpx_gt_u64_e64 s[8:9], v[22:23]
	s_cbranch_execz .LBB0_31
; %bb.1:
	s_clause 0x1
	s_load_b128 s[4:7], s[0:1], 0x18
	s_load_b64 s[16:17], s[0:1], 0x0
	v_mul_lo_u16 v1, v1, 52
	s_movk_i32 s2, 0xfe12
	s_mov_b32 s3, -1
	s_delay_alu instid0(VALU_DEP_1) | instskip(NEXT) | instid1(VALU_DEP_1)
	v_sub_nc_u16 v2, v0, v1
	v_and_b32_e32 v99, 0xffff, v2
	s_wait_kmcnt 0x0
	s_load_b128 s[12:15], s[4:5], 0x0
	s_wait_kmcnt 0x0
	v_mad_co_u64_u32 v[0:1], null, s14, v22, 0
	v_mad_co_u64_u32 v[3:4], null, s12, v99, 0
	s_mul_u64 s[4:5], s[12:13], 0x222
	s_mul_u64 s[2:3], s[12:13], s[2:3]
	s_delay_alu instid0(SALU_CYCLE_1) | instskip(NEXT) | instid1(VALU_DEP_2)
	s_lshl_b64 s[2:3], s[2:3], 2
	v_mad_co_u64_u32 v[5:6], null, s15, v22, v[1:2]
	s_delay_alu instid0(VALU_DEP_1) | instskip(SKIP_1) | instid1(VALU_DEP_1)
	v_mad_co_u64_u32 v[6:7], null, s13, v99, v[4:5]
	v_mov_b32_e32 v1, v5
	v_lshlrev_b64_e32 v[0:1], 2, v[0:1]
	s_delay_alu instid0(VALU_DEP_3)
	v_mov_b32_e32 v4, v6
	v_lshlrev_b32_e32 v66, 2, v99
	s_clause 0x4
	global_load_b32 v97, v66, s[16:17] offset:2392
	global_load_b32 v93, v66, s[16:17] offset:2600
	;; [unrolled: 1-line block ×5, first 2 shown]
	v_lshlrev_b64_e32 v[3:4], 2, v[3:4]
	s_clause 0xe
	global_load_b32 v105, v66, s[16:17]
	global_load_b32 v101, v66, s[16:17] offset:208
	global_load_b32 v96, v66, s[16:17] offset:416
	;; [unrolled: 1-line block ×14, first 2 shown]
	v_add_co_u32 v0, vcc_lo, s10, v0
	v_add_co_ci_u32_e32 v1, vcc_lo, s11, v1, vcc_lo
	s_lshl_b64 s[10:11], s[4:5], 2
	s_delay_alu instid0(VALU_DEP_2) | instskip(SKIP_1) | instid1(VALU_DEP_2)
	v_add_co_u32 v0, vcc_lo, v0, v3
	s_wait_alu 0xfffd
	v_add_co_ci_u32_e32 v1, vcc_lo, v1, v4, vcc_lo
	v_add_nc_u32_e32 v14, 0xc00, v66
	s_wait_alu 0xfffe
	v_add_co_u32 v3, vcc_lo, v0, s10
	s_wait_alu 0xfffd
	v_add_co_ci_u32_e32 v4, vcc_lo, s11, v1, vcc_lo
	global_load_b32 v7, v[0:1], off
	v_add_co_u32 v20, s12, s16, v66
	global_load_b32 v8, v[3:4], off
	v_add_co_u32 v0, vcc_lo, v3, s2
	s_wait_alu 0xfffd
	v_add_co_ci_u32_e32 v1, vcc_lo, s3, v4, vcc_lo
	s_wait_alu 0xf1ff
	v_add_co_ci_u32_e64 v21, null, s17, 0, s12
	v_add_co_u32 v3, vcc_lo, v0, s10
	s_wait_alu 0xfffd
	v_add_co_ci_u32_e32 v4, vcc_lo, s11, v1, vcc_lo
	s_clause 0x1
	global_load_b32 v9, v[0:1], off
	global_load_b32 v10, v[3:4], off
	v_add_co_u32 v0, vcc_lo, v3, s2
	s_wait_alu 0xfffd
	v_add_co_ci_u32_e32 v1, vcc_lo, s3, v4, vcc_lo
	s_delay_alu instid0(VALU_DEP_2) | instskip(SKIP_1) | instid1(VALU_DEP_2)
	v_add_co_u32 v3, vcc_lo, v0, s10
	s_wait_alu 0xfffd
	v_add_co_ci_u32_e32 v4, vcc_lo, s11, v1, vcc_lo
	global_load_b32 v11, v[0:1], off
	global_load_b32 v12, v[3:4], off
	v_add_co_u32 v0, vcc_lo, v3, s2
	s_wait_alu 0xfffd
	v_add_co_ci_u32_e32 v1, vcc_lo, s3, v4, vcc_lo
	s_delay_alu instid0(VALU_DEP_2) | instskip(SKIP_1) | instid1(VALU_DEP_2)
	v_add_co_u32 v3, vcc_lo, v0, s10
	s_wait_alu 0xfffd
	v_add_co_ci_u32_e32 v4, vcc_lo, s11, v1, vcc_lo
	global_load_b32 v13, v[0:1], off
	v_add_co_u32 v0, vcc_lo, v3, s2
	s_wait_alu 0xfffd
	v_add_co_ci_u32_e32 v1, vcc_lo, s3, v4, vcc_lo
	global_load_b32 v15, v[3:4], off
	global_load_b32 v16, v[0:1], off
	v_add_co_u32 v0, vcc_lo, v0, s10
	s_wait_alu 0xfffd
	v_add_co_ci_u32_e32 v1, vcc_lo, s11, v1, vcc_lo
	s_delay_alu instid0(VALU_DEP_2) | instskip(SKIP_1) | instid1(VALU_DEP_2)
	v_add_co_u32 v3, vcc_lo, v0, s2
	s_wait_alu 0xfffd
	v_add_co_ci_u32_e32 v4, vcc_lo, s3, v1, vcc_lo
	global_load_b32 v17, v[0:1], off
	;; [unrolled: 13-line block ×3, first 2 shown]
	global_load_b32 v24, v[3:4], off
	v_add_co_u32 v0, vcc_lo, v3, s2
	s_wait_alu 0xfffd
	v_add_co_ci_u32_e32 v1, vcc_lo, s3, v4, vcc_lo
	s_delay_alu instid0(VALU_DEP_2) | instskip(SKIP_1) | instid1(VALU_DEP_2)
	v_add_co_u32 v3, vcc_lo, v0, s10
	s_wait_alu 0xfffd
	v_add_co_ci_u32_e32 v4, vcc_lo, s11, v1, vcc_lo
	global_load_b32 v25, v[0:1], off
	v_add_co_u32 v0, vcc_lo, v3, s2
	s_wait_alu 0xfffd
	v_add_co_ci_u32_e32 v1, vcc_lo, s3, v4, vcc_lo
	global_load_b32 v26, v[3:4], off
	;; [unrolled: 4-line block ×3, first 2 shown]
	v_add_co_u32 v5, vcc_lo, v3, s2
	s_wait_alu 0xfffd
	v_add_co_ci_u32_e32 v6, vcc_lo, s3, v4, vcc_lo
	s_delay_alu instid0(VALU_DEP_2) | instskip(SKIP_1) | instid1(VALU_DEP_2)
	v_add_co_u32 v0, vcc_lo, v5, s10
	s_wait_alu 0xfffd
	v_add_co_ci_u32_e32 v1, vcc_lo, s11, v6, vcc_lo
	global_load_b32 v28, v[3:4], off
	global_load_b32 v6, v[5:6], off
	;; [unrolled: 1-line block ×3, first 2 shown]
	s_load_b64 s[8:9], s[0:1], 0x38
	s_load_b128 s[4:7], s[6:7], 0x0
	v_add_nc_u32_e32 v5, 0x800, v66
	v_add_nc_u32_e32 v4, 0x200, v66
	;; [unrolled: 1-line block ×3, first 2 shown]
	v_cmp_gt_u16_e32 vcc_lo, 26, v2
	s_wait_loadcnt 0x22
	v_lshrrev_b32_e32 v107, 16, v105
	s_wait_loadcnt 0x21
	v_lshrrev_b32_e32 v103, 16, v101
	v_lshrrev_b32_e32 v102, 16, v97
	s_wait_loadcnt 0x20
	v_lshrrev_b32_e32 v100, 16, v96
	;; [unrolled: 3-line block ×4, first 2 shown]
	v_lshrrev_b32_e32 v91, 16, v88
	v_lshrrev_b32_e32 v89, 16, v86
	;; [unrolled: 1-line block ×5, first 2 shown]
	s_wait_loadcnt 0x17
	v_lshrrev_b32_e32 v81, 16, v79
	v_lshrrev_b32_e32 v78, 16, v76
	s_wait_loadcnt 0x16
	v_lshrrev_b32_e32 v77, 16, v75
	v_lshrrev_b32_e32 v74, 16, v73
	;; [unrolled: 3-line block ×3, first 2 shown]
	s_wait_loadcnt 0x14
	v_lshrrev_b32_e32 v69, 16, v67
	s_wait_loadcnt 0x13
	v_lshrrev_b32_e32 v30, 16, v7
	v_mul_f16_e32 v31, v107, v7
	s_wait_loadcnt 0x12
	v_lshrrev_b32_e32 v33, 16, v8
	v_mul_f16_e32 v34, v106, v8
	v_mul_f16_e32 v32, v107, v30
	v_fma_f16 v30, v105, v30, -v31
	s_delay_alu instid0(VALU_DEP_2)
	v_fmac_f16_e32 v32, v105, v7
	v_mul_f16_e32 v7, v106, v33
	v_fma_f16 v33, v104, v33, -v34
	s_wait_loadcnt 0x11
	v_lshrrev_b32_e32 v31, 16, v9
	v_mul_f16_e32 v34, v103, v9
	v_pack_b32_f16 v30, v32, v30
	v_fmac_f16_e32 v7, v104, v8
	s_wait_loadcnt 0x10
	v_lshrrev_b32_e32 v32, 16, v10
	v_mul_f16_e32 v8, v103, v31
	v_mul_f16_e32 v35, v102, v10
	v_fma_f16 v31, v101, v31, -v34
	v_pack_b32_f16 v7, v7, v33
	s_delay_alu instid0(VALU_DEP_4)
	v_fmac_f16_e32 v8, v101, v9
	v_mul_f16_e32 v9, v102, v32
	s_wait_loadcnt 0xf
	v_lshrrev_b32_e32 v33, 16, v11
	v_fma_f16 v32, v97, v32, -v35
	v_mul_f16_e32 v34, v100, v11
	ds_store_b32 v66, v7 offset:2184
	v_pack_b32_f16 v7, v8, v31
	v_fmac_f16_e32 v9, v97, v10
	v_mul_f16_e32 v8, v100, v33
	s_wait_loadcnt 0xe
	v_lshrrev_b32_e32 v31, 16, v12
	v_fma_f16 v10, v96, v33, -v34
	v_mul_f16_e32 v33, v98, v12
	ds_store_2addr_b32 v66, v30, v7 offset1:52
	v_pack_b32_f16 v7, v9, v32
	v_fmac_f16_e32 v8, v96, v11
	v_mul_f16_e32 v9, v98, v31
	s_wait_loadcnt 0xd
	v_lshrrev_b32_e32 v11, 16, v13
	v_fma_f16 v30, v93, v31, -v33
	v_mul_f16_e32 v31, v95, v13
	v_pack_b32_f16 v8, v8, v10
	v_fmac_f16_e32 v9, v93, v12
	v_mul_f16_e32 v10, v95, v11
	s_wait_loadcnt 0xc
	v_lshrrev_b32_e32 v12, 16, v15
	v_mul_f16_e32 v32, v94, v15
	v_fma_f16 v11, v92, v11, -v31
	v_pack_b32_f16 v9, v9, v30
	v_fmac_f16_e32 v10, v92, v13
	v_mul_f16_e32 v13, v94, v12
	s_wait_loadcnt 0xb
	v_lshrrev_b32_e32 v30, 16, v16
	v_fma_f16 v12, v90, v12, -v32
	v_mul_f16_e32 v31, v91, v16
	ds_store_2addr_b32 v5, v7, v9 offset0:86 offset1:138
	v_pack_b32_f16 v7, v10, v11
	v_fmac_f16_e32 v13, v90, v15
	v_mul_f16_e32 v9, v91, v30
	s_wait_loadcnt 0xa
	v_lshrrev_b32_e32 v11, 16, v17
	v_fma_f16 v10, v88, v30, -v31
	v_mul_f16_e32 v15, v89, v17
	ds_store_2addr_b32 v66, v8, v7 offset0:104 offset1:156
	v_pack_b32_f16 v7, v13, v12
	v_fmac_f16_e32 v9, v88, v16
	v_mul_f16_e32 v8, v89, v11
	s_wait_loadcnt 0x9
	v_lshrrev_b32_e32 v12, 16, v18
	v_fma_f16 v11, v86, v11, -v15
	v_mul_f16_e32 v13, v87, v18
	v_pack_b32_f16 v9, v9, v10
	v_fmac_f16_e32 v8, v86, v17
	v_mul_f16_e32 v10, v87, v12
	s_wait_loadcnt 0x8
	v_lshrrev_b32_e32 v15, 16, v19
	v_mul_f16_e32 v16, v85, v19
	v_fma_f16 v12, v84, v12, -v13
	v_pack_b32_f16 v8, v8, v11
	v_fmac_f16_e32 v10, v84, v18
	v_mul_f16_e32 v11, v85, v15
	v_fma_f16 v13, v82, v15, -v16
	s_wait_loadcnt 0x7
	v_lshrrev_b32_e32 v15, 16, v23
	v_mul_f16_e32 v16, v83, v23
	ds_store_2addr_b32 v5, v7, v8 offset0:190 offset1:242
	v_pack_b32_f16 v7, v10, v12
	v_fmac_f16_e32 v11, v82, v19
	v_mul_f16_e32 v8, v83, v15
	s_wait_loadcnt 0x6
	v_lshrrev_b32_e32 v12, 16, v24
	v_fma_f16 v10, v80, v15, -v16
	v_mul_f16_e32 v15, v81, v24
	ds_store_2addr_b32 v4, v9, v7 offset0:80 offset1:132
	v_pack_b32_f16 v7, v11, v13
	v_fmac_f16_e32 v8, v80, v23
	v_mul_f16_e32 v9, v81, v12
	s_wait_loadcnt 0x5
	v_lshrrev_b32_e32 v11, 16, v25
	v_mul_f16_e32 v13, v78, v25
	v_fma_f16 v12, v79, v12, -v15
	v_pack_b32_f16 v8, v8, v10
	v_fmac_f16_e32 v9, v79, v24
	v_mul_f16_e32 v10, v78, v11
	s_wait_loadcnt 0x4
	v_lshrrev_b32_e32 v15, 16, v26
	v_fma_f16 v11, v76, v11, -v13
	v_mul_f16_e32 v13, v77, v26
	v_pack_b32_f16 v9, v9, v12
	v_fmac_f16_e32 v10, v76, v25
	v_mul_f16_e32 v12, v77, v15
	s_wait_loadcnt 0x3
	v_lshrrev_b32_e32 v16, 16, v27
	v_fma_f16 v13, v75, v15, -v13
	v_mul_f16_e32 v15, v74, v27
	ds_store_2addr_b32 v14, v7, v9 offset0:38 offset1:90
	v_pack_b32_f16 v7, v10, v11
	s_wait_loadcnt 0x2
	v_lshrrev_b32_e32 v11, 16, v28
	v_mul_f16_e32 v9, v74, v16
	v_fma_f16 v10, v73, v16, -v15
	v_mul_f16_e32 v15, v72, v28
	s_wait_loadcnt 0x1
	v_lshrrev_b32_e32 v16, 16, v6
	s_wait_loadcnt 0x0
	v_lshrrev_b32_e32 v17, 16, v29
	v_mul_f16_e32 v18, v72, v11
	v_mul_f16_e32 v24, v69, v29
	v_fma_f16 v11, v71, v11, -v15
	v_mul_f16_e32 v15, v70, v6
	v_mul_f16_e32 v19, v70, v16
	;; [unrolled: 1-line block ×3, first 2 shown]
	v_fmac_f16_e32 v12, v75, v26
	v_fmac_f16_e32 v9, v73, v27
	;; [unrolled: 1-line block ×3, first 2 shown]
	v_fma_f16 v15, v68, v16, -v15
	v_fmac_f16_e32 v19, v68, v6
	v_fmac_f16_e32 v23, v67, v29
	v_fma_f16 v6, v67, v17, -v24
	v_pack_b32_f16 v12, v12, v13
	v_pack_b32_f16 v9, v9, v10
	;; [unrolled: 1-line block ×5, first 2 shown]
	ds_store_2addr_b32 v3, v8, v7 offset0:56 offset1:108
	ds_store_2addr_b32 v14, v12, v10 offset0:142 offset1:194
	;; [unrolled: 1-line block ×3, first 2 shown]
	ds_store_b32 v66, v6 offset:4056
	s_and_saveexec_b32 s12, vcc_lo
	s_cbranch_execz .LBB0_3
; %bb.2:
	v_add_co_u32 v0, s2, v0, s2
	s_wait_alu 0xf1ff
	v_add_co_ci_u32_e64 v1, s2, s3, v1, s2
	s_delay_alu instid0(VALU_DEP_2) | instskip(SKIP_1) | instid1(VALU_DEP_2)
	v_add_co_u32 v6, s2, v0, s10
	s_wait_alu 0xf1ff
	v_add_co_ci_u32_e64 v7, s2, s11, v1, s2
	s_clause 0x1
	global_load_b32 v2, v[20:21], off offset:2080
	global_load_b32 v8, v[20:21], off offset:4264
	global_load_b32 v0, v[0:1], off
	global_load_b32 v1, v[6:7], off
	s_wait_loadcnt 0x3
	v_lshrrev_b32_e32 v6, 16, v2
	s_wait_loadcnt 0x2
	v_lshrrev_b32_e32 v7, 16, v8
	;; [unrolled: 2-line block ×4, first 2 shown]
	v_mul_f16_e32 v11, v6, v0
	s_delay_alu instid0(VALU_DEP_3) | instskip(NEXT) | instid1(VALU_DEP_3)
	v_mul_f16_e32 v6, v6, v9
	v_mul_f16_e32 v12, v7, v10
	;; [unrolled: 1-line block ×3, first 2 shown]
	s_delay_alu instid0(VALU_DEP_4) | instskip(NEXT) | instid1(VALU_DEP_4)
	v_fma_f16 v9, v2, v9, -v11
	v_fmac_f16_e32 v6, v2, v0
	s_delay_alu instid0(VALU_DEP_4) | instskip(NEXT) | instid1(VALU_DEP_4)
	v_fmac_f16_e32 v12, v8, v1
	v_fma_f16 v0, v8, v10, -v7
	s_delay_alu instid0(VALU_DEP_3) | instskip(NEXT) | instid1(VALU_DEP_2)
	v_pack_b32_f16 v1, v6, v9
	v_pack_b32_f16 v0, v12, v0
	ds_store_b32 v66, v1 offset:2080
	ds_store_b32 v66, v0 offset:4264
.LBB0_3:
	s_wait_alu 0xfffe
	s_or_b32 exec_lo, exec_lo, s12
	v_add_nc_u32_e32 v2, 0xa00, v66
	global_wb scope:SCOPE_SE
	s_wait_dscnt 0x0
	s_wait_kmcnt 0x0
	s_barrier_signal -1
	s_barrier_wait -1
	global_inv scope:SCOPE_SE
	ds_load_2addr_b32 v[10:11], v66 offset1:52
	ds_load_2addr_b32 v[0:1], v5 offset0:34 offset1:86
	ds_load_2addr_b32 v[8:9], v66 offset0:104 offset1:156
	;; [unrolled: 1-line block ×9, first 2 shown]
                                        ; implicit-def: $vgpr23
                                        ; implicit-def: $vgpr24
	s_and_saveexec_b32 s2, vcc_lo
	s_cbranch_execz .LBB0_5
; %bb.4:
	ds_load_b32 v23, v66 offset:2080
	ds_load_b32 v24, v66 offset:4264
.LBB0_5:
	s_wait_alu 0xfffe
	s_or_b32 exec_lo, exec_lo, s2
	s_load_b64 s[2:3], s[0:1], 0x8
	v_add_co_u32 v45, null, v99, 52
	s_wait_dscnt 0x8
	v_pk_add_f16 v28, v10, v0 neg_lo:[0,1] neg_hi:[0,1]
	v_pk_add_f16 v30, v11, v1 neg_lo:[0,1] neg_hi:[0,1]
	v_add_co_u32 v42, null, 0x68, v99
	v_add_co_u32 v33, null, 0xd0, v99
	v_lshlrev_b32_e32 v25, 1, v99
	s_wait_dscnt 0x6
	v_pk_add_f16 v16, v8, v16 neg_lo:[0,1] neg_hi:[0,1]
	v_pk_add_f16 v31, v9, v17 neg_lo:[0,1] neg_hi:[0,1]
	s_wait_dscnt 0x4
	v_pk_add_f16 v18, v6, v18 neg_lo:[0,1] neg_hi:[0,1]
	v_lshlrev_b32_e32 v123, 3, v99
	v_pk_fma_f16 v27, v10, 2.0, v28 op_sel_hi:[1,0,1] neg_lo:[0,0,1] neg_hi:[0,0,1]
	v_lshlrev_b32_e32 v124, 3, v45
	v_pk_fma_f16 v29, v11, 2.0, v30 op_sel_hi:[1,0,1] neg_lo:[0,0,1] neg_hi:[0,0,1]
	v_add_co_u32 v34, null, 0x104, v99
	v_add_co_u32 v35, null, 0x138, v99
	;; [unrolled: 1-line block ×3, first 2 shown]
	v_pk_add_f16 v19, v7, v19 neg_lo:[0,1] neg_hi:[0,1]
	s_wait_dscnt 0x0
	v_pk_add_f16 v1, v23, v24 neg_lo:[0,1] neg_hi:[0,1]
	v_pk_add_f16 v32, v3, v15 neg_lo:[0,1] neg_hi:[0,1]
	global_wb scope:SCOPE_SE
	s_wait_kmcnt 0x0
	s_barrier_signal -1
	s_barrier_wait -1
	global_inv scope:SCOPE_SE
	ds_store_b64 v123, v[27:28]
	ds_store_b64 v124, v[29:30]
	v_lshlrev_b32_e32 v125, 3, v42
	v_pk_fma_f16 v15, v8, 2.0, v16 op_sel_hi:[1,0,1] neg_lo:[0,0,1] neg_hi:[0,0,1]
	v_pk_fma_f16 v30, v9, 2.0, v31 op_sel_hi:[1,0,1] neg_lo:[0,0,1] neg_hi:[0,0,1]
	v_lshlrev_b32_e32 v41, 2, v25
	v_lshlrev_b32_e32 v129, 3, v33
	v_pk_fma_f16 v17, v6, 2.0, v18 op_sel_hi:[1,0,1] neg_lo:[0,0,1] neg_hi:[0,0,1]
	v_pk_add_f16 v12, v4, v12 neg_lo:[0,1] neg_hi:[0,1]
	v_pk_add_f16 v24, v5, v13 neg_lo:[0,1] neg_hi:[0,1]
	;; [unrolled: 1-line block ×3, first 2 shown]
	v_pk_fma_f16 v0, v23, 2.0, v1 op_sel_hi:[1,0,1] neg_lo:[0,0,1] neg_hi:[0,0,1]
	v_lshlrev_b32_e32 v43, 1, v45
	v_lshlrev_b32_e32 v39, 1, v42
	ds_store_b64 v125, v[15:16]
	v_add_nc_u32_e32 v40, 0x138, v25
	ds_store_b64 v41, v[30:31] offset:1248
	v_lshlrev_b32_e32 v27, 1, v33
	ds_store_b64 v129, v[17:18]
	v_lshlrev_b32_e32 v28, 1, v34
	v_lshlrev_b32_e32 v126, 3, v34
	v_pk_fma_f16 v18, v7, 2.0, v19 op_sel_hi:[1,0,1] neg_lo:[0,0,1] neg_hi:[0,0,1]
	v_lshlrev_b32_e32 v29, 1, v35
	v_lshlrev_b32_e32 v128, 3, v35
	v_add_nc_u32_e32 v141, 0x2d8, v25
	v_add_nc_u32_e32 v142, 0x340, v25
	;; [unrolled: 1-line block ×3, first 2 shown]
	v_lshlrev_b32_e32 v130, 3, v26
	v_pk_fma_f16 v11, v4, 2.0, v12 op_sel_hi:[1,0,1] neg_lo:[0,0,1] neg_hi:[0,0,1]
	v_pk_fma_f16 v23, v5, 2.0, v24 op_sel_hi:[1,0,1] neg_lo:[0,0,1] neg_hi:[0,0,1]
	;; [unrolled: 1-line block ×3, first 2 shown]
	v_add_nc_u32_e32 v2, 0x800, v41
	v_pk_fma_f16 v31, v3, 2.0, v32 op_sel_hi:[1,0,1] neg_lo:[0,0,1] neg_hi:[0,0,1]
	ds_store_b64 v126, v[18:19]
	ds_store_b64 v128, v[11:12]
	ds_store_2addr_b64 v2, v[23:24], v[13:14] offset0:108 offset1:160
	ds_store_b64 v41, v[31:32] offset:3744
	s_and_saveexec_b32 s0, vcc_lo
	s_cbranch_execz .LBB0_7
; %bb.6:
	ds_store_b64 v130, v[0:1]
.LBB0_7:
	s_wait_alu 0xfffe
	s_or_b32 exec_lo, exec_lo, s0
	v_add_nc_u32_e32 v6, 0x800, v66
	v_add_nc_u32_e32 v7, 0x200, v66
	v_add_nc_u32_e32 v8, 0xa00, v66
	v_add_nc_u32_e32 v14, 0x400, v66
	v_add_nc_u32_e32 v15, 0xc00, v66
	global_wb scope:SCOPE_SE
	s_wait_dscnt 0x0
	s_barrier_signal -1
	s_barrier_wait -1
	global_inv scope:SCOPE_SE
	ds_load_2addr_b32 v[4:5], v66 offset1:52
	ds_load_2addr_b32 v[12:13], v6 offset0:34 offset1:86
	ds_load_2addr_b32 v[2:3], v66 offset0:104 offset1:156
	;; [unrolled: 1-line block ×9, first 2 shown]
	s_and_saveexec_b32 s0, vcc_lo
	s_cbranch_execz .LBB0_9
; %bb.8:
	ds_load_b32 v0, v66 offset:2080
	ds_load_b32 v1, v66 offset:4264
.LBB0_9:
	s_wait_alu 0xfffe
	s_or_b32 exec_lo, exec_lo, s0
	v_and_b32_e32 v121, 1, v99
	s_wait_dscnt 0x8
	v_lshrrev_b32_e32 v31, 16, v12
	v_lshlrev_b32_e32 v127, 1, v26
	v_lshrrev_b32_e32 v33, 16, v13
	s_wait_dscnt 0x6
	v_lshrrev_b32_e32 v35, 16, v23
	v_lshlrev_b32_e32 v30, 2, v121
	v_and_or_b32 v25, 0x7c, v25, v121
	v_and_or_b32 v26, 0xfc, v43, v121
	;; [unrolled: 1-line block ×4, first 2 shown]
	global_load_b32 v122, v30, s[2:3]
	v_and_or_b32 v58, 0x1fc, v39, v121
	v_and_or_b32 v29, 0x2fc, v29, v121
	v_lshrrev_b32_e32 v37, 16, v24
	v_and_or_b32 v59, 0x1fc, v40, v121
	v_and_or_b32 v60, 0x3fc, v141, v121
	s_wait_dscnt 0x4
	v_lshrrev_b32_e32 v44, 16, v18
	v_and_or_b32 v61, 0x3fc, v142, v121
	v_and_or_b32 v62, 0x7fc, v143, v121
	v_lshrrev_b32_e32 v47, 16, v19
	s_wait_dscnt 0x2
	v_lshrrev_b32_e32 v49, 16, v16
	v_lshrrev_b32_e32 v51, 16, v17
	s_wait_dscnt 0x0
	v_lshrrev_b32_e32 v53, 16, v14
	v_lshrrev_b32_e32 v55, 16, v15
	;; [unrolled: 1-line block ×3, first 2 shown]
	v_lshlrev_b32_e32 v136, 2, v25
	v_lshlrev_b32_e32 v137, 2, v26
	;; [unrolled: 1-line block ×10, first 2 shown]
	v_lshrrev_b32_e32 v30, 16, v4
	v_lshrrev_b32_e32 v32, 16, v5
	;; [unrolled: 1-line block ×11, first 2 shown]
	global_wb scope:SCOPE_SE
	s_wait_loadcnt 0x0
	s_barrier_signal -1
	s_barrier_wait -1
	global_inv scope:SCOPE_SE
	v_lshrrev_b32_e32 v144, 16, v122
	s_delay_alu instid0(VALU_DEP_1)
	v_mul_f16_e64 v25, v31, v144
	v_mul_f16_e64 v26, v12, v144
	;; [unrolled: 1-line block ×22, first 2 shown]
	v_fma_f16 v12, v12, v122, -v25
	v_fmac_f16_e32 v26, v31, v122
	v_fma_f16 v13, v13, v122, -v27
	v_fmac_f16_e32 v28, v33, v122
	;; [unrolled: 2-line block ×11, first 2 shown]
	v_sub_f16_e32 v27, v4, v12
	v_sub_f16_e32 v29, v30, v26
	v_sub_f16_e32 v31, v5, v13
	v_sub_f16_e32 v28, v32, v28
	v_sub_f16_e32 v33, v2, v23
	v_sub_f16_e32 v35, v34, v58
	v_sub_f16_e32 v24, v3, v24
	v_sub_f16_e32 v37, v36, v60
	v_sub_f16_e32 v47, v10, v18
	v_sub_f16_e32 v49, v38, v62
	v_sub_f16_e32 v51, v11, v19
	v_sub_f16_e32 v53, v46, v64
	v_sub_f16_e32 v12, v8, v16
	v_sub_f16_e32 v44, v48, v108
	v_sub_f16_e32 v25, v9, v17
	v_sub_f16_e64 v151, v50, v110
	v_sub_f16_e32 v16, v6, v14
	v_sub_f16_e64 v148, v52, v112
	v_sub_f16_e32 v18, v7, v15
	;; [unrolled: 2-line block ×3, first 2 shown]
	v_sub_f16_e64 v150, v57, v116
	v_fma_f16 v1, v4, 2.0, -v27
	v_fma_f16 v4, v30, 2.0, -v29
	;; [unrolled: 1-line block ×22, first 2 shown]
	v_pack_b32_f16 v0, v27, v29
	v_pack_b32_f16 v1, v1, v4
	;; [unrolled: 1-line block ×20, first 2 shown]
	ds_store_2addr_b32 v136, v1, v0 offset1:2
	ds_store_2addr_b32 v137, v4, v6 offset1:2
	;; [unrolled: 1-line block ×10, first 2 shown]
	s_and_saveexec_b32 s0, vcc_lo
	s_cbranch_execz .LBB0_11
; %bb.10:
	v_and_or_b32 v0, 0x47c, v127, v121
	v_perm_b32 v1, v152, v19, 0x5040100
	v_perm_b32 v2, v150, v23, 0x5040100
	s_delay_alu instid0(VALU_DEP_3)
	v_lshlrev_b32_e32 v0, 2, v0
	ds_store_2addr_b32 v0, v1, v2 offset1:2
.LBB0_11:
	s_wait_alu 0xfffe
	s_or_b32 exec_lo, exec_lo, s0
	v_add_nc_u32_e32 v2, 0x400, v66
	v_add_nc_u32_e32 v3, 0x600, v66
	;; [unrolled: 1-line block ×4, first 2 shown]
	global_wb scope:SCOPE_SE
	s_wait_dscnt 0x0
	s_barrier_signal -1
	s_barrier_wait -1
	global_inv scope:SCOPE_SE
	ds_load_2addr_b32 v[14:15], v66 offset1:84
	ds_load_2addr_b32 v[35:36], v66 offset0:168 offset1:252
	ds_load_2addr_b32 v[33:34], v2 offset0:80 offset1:164
	ds_load_2addr_b32 v[31:32], v3 offset0:120 offset1:204
	ds_load_2addr_b32 v[29:30], v1 offset0:160 offset1:244
	ds_load_2addr_b32 v[27:28], v0 offset0:72 offset1:156
	ds_load_b32 v155, v66 offset:4032
	v_cmp_gt_u16_e64 s0, 32, v99
                                        ; implicit-def: $vgpr159
                                        ; implicit-def: $vgpr37
                                        ; implicit-def: $vgpr157
                                        ; implicit-def: $vgpr158
                                        ; implicit-def: $vgpr156
                                        ; implicit-def: $vgpr160
	s_delay_alu instid0(VALU_DEP_1)
	s_and_saveexec_b32 s1, s0
	s_cbranch_execz .LBB0_13
; %bb.12:
	ds_load_2addr_b32 v[12:13], v66 offset0:52 offset1:136
	ds_load_2addr_b32 v[16:17], v2 offset0:132 offset1:216
	v_add_nc_u32_e32 v2, 0x200, v66
	ds_load_2addr_b32 v[18:19], v1 offset0:44 offset1:128
	v_add_nc_u32_e32 v1, 0xa00, v66
	ds_load_2addr_b32 v[37:38], v0 offset0:124 offset1:208
	ds_load_2addr_b32 v[25:26], v2 offset0:92 offset1:176
	;; [unrolled: 1-line block ×3, first 2 shown]
	ds_load_b32 v156, v66 offset:4240
	s_wait_dscnt 0x6
	v_lshrrev_b32_e32 v44, 16, v12
	v_lshrrev_b32_e32 v149, 16, v13
	s_wait_dscnt 0x5
	v_lshrrev_b32_e32 v148, 16, v16
	v_lshrrev_b32_e32 v153, 16, v17
	;; [unrolled: 3-line block ×6, first 2 shown]
	s_wait_dscnt 0x0
	v_lshrrev_b32_e32 v160, 16, v156
.LBB0_13:
	s_wait_alu 0xfffe
	s_or_b32 exec_lo, exec_lo, s1
	v_and_b32_e32 v108, 3, v99
	s_wait_dscnt 0x6
	v_lshrrev_b32_e32 v175, 16, v15
	s_wait_dscnt 0x5
	v_lshrrev_b32_e32 v174, 16, v35
	s_wait_dscnt 0x4
	v_lshrrev_b32_e32 v171, 16, v34
	s_wait_dscnt 0x3
	v_lshrrev_b32_e32 v169, 16, v32
	v_mul_u32_u24_e32 v0, 12, v108
	v_lshrrev_b32_e32 v173, 16, v36
	v_lshrrev_b32_e32 v172, 16, v33
	s_wait_dscnt 0x2
	v_lshrrev_b32_e32 v167, 16, v30
	v_lshrrev_b32_e32 v145, 16, v14
	v_lshlrev_b32_e32 v8, 2, v0
	v_lshrrev_b32_e32 v168, 16, v29
	v_lshrrev_b32_e32 v170, 16, v31
	s_wait_dscnt 0x1
	v_lshrrev_b32_e32 v165, 16, v28
	s_wait_dscnt 0x0
	v_lshrrev_b32_e32 v164, 16, v155
	s_clause 0x2
	global_load_b128 v[4:7], v8, s[2:3] offset:8
	global_load_b128 v[0:3], v8, s[2:3] offset:24
	;; [unrolled: 1-line block ×3, first 2 shown]
	v_lshrrev_b32_e32 v166, 16, v27
	global_wb scope:SCOPE_SE
	s_wait_loadcnt 0x0
	s_barrier_signal -1
	s_barrier_wait -1
	global_inv scope:SCOPE_SE
	v_lshrrev_b32_e32 v119, 16, v4
	v_lshrrev_b32_e32 v117, 16, v5
	;; [unrolled: 1-line block ×6, first 2 shown]
	v_mul_f16_e64 v176, v175, v119
	v_lshrrev_b32_e32 v115, 16, v6
	v_lshrrev_b32_e32 v109, 16, v1
	;; [unrolled: 1-line block ×3, first 2 shown]
	v_mul_f16_e64 v163, v15, v119
	v_mul_f16_e64 v177, v174, v117
	;; [unrolled: 1-line block ×8, first 2 shown]
	v_fma_f16 v176, v15, v4, -v176
	v_mul_f16_e64 v162, v35, v117
	v_mul_f16_e64 v178, v173, v115
	;; [unrolled: 1-line block ×3, first 2 shown]
	v_mul_f16_e32 v60, v34, v111
	v_mul_f16_e32 v59, v32, v110
	v_mul_f16_e32 v61, v29, v112
	v_mul_f16_e64 v184, v167, v114
	v_mul_f16_e32 v50, v25, v117
	v_mul_f16_e64 v189, v154, v115
	v_mul_f16_e64 v192, v147, v109
	v_mul_f16_e32 v52, v19, v110
	v_mul_f16_e32 v51, v23, v112
	v_mul_f16_e64 v195, v159, v114
	v_fmac_f16_e64 v163, v175, v4
	v_fma_f16 v35, v35, v5, -v177
	v_fmac_f16_e64 v146, v172, v7
	v_fma_f16 v172, v34, v0, -v180
	v_fma_f16 v34, v32, v2, -v182
	;; [unrolled: 1-line block ×5, first 2 shown]
	v_add_f16_e64 v23, v14, v176
	v_mul_f16_e64 v161, v36, v115
	v_mul_f16_e64 v183, v168, v112
	v_mul_f16_e32 v62, v30, v114
	v_mul_f16_e32 v53, v26, v115
	;; [unrolled: 1-line block ×4, first 2 shown]
	v_fmac_f16_e64 v162, v174, v5
	v_fma_f16 v36, v36, v6, -v178
	v_fmac_f16_e64 v61, v168, v3
	v_fma_f16 v168, v30, v8, -v184
	v_fma_f16 v30, v26, v6, -v189
	;; [unrolled: 1-line block ×4, first 2 shown]
	v_add_f16_e64 v24, v145, v163
	v_add_f16_e32 v23, v23, v35
	v_fmac_f16_e64 v161, v173, v6
	v_fma_f16 v173, v33, v7, -v179
	v_lshrrev_b32_e32 v120, 16, v11
	v_add_f16_e64 v24, v24, v162
	v_add_f16_e32 v23, v23, v36
	v_mul_f16_e64 v181, v170, v109
	v_lshrrev_b32_e32 v118, 16, v10
	v_mul_f16_e32 v58, v31, v109
	v_add_f16_e64 v24, v24, v161
	v_add_f16_e64 v23, v23, v173
	v_mul_f16_e64 v65, v155, v120
	v_fmac_f16_e64 v60, v171, v0
	v_fma_f16 v33, v31, v1, -v181
	v_add_f16_e64 v24, v24, v146
	v_add_f16_e64 v23, v23, v172
	v_lshrrev_b32_e32 v116, 16, v9
	v_mul_f16_e64 v186, v165, v118
	v_mul_f16_e32 v64, v28, v118
	v_mul_f16_e64 v187, v164, v120
	v_mul_f16_e32 v54, v16, v113
	v_fmac_f16_e64 v58, v170, v1
	v_fmac_f16_e64 v65, v164, v11
	v_add_f16_e32 v24, v24, v60
	v_add_f16_e32 v23, v23, v33
	v_mul_f16_e64 v185, v166, v116
	v_mul_f16_e32 v63, v27, v116
	v_mul_f16_e64 v190, v148, v113
	v_mul_f16_e64 v191, v153, v111
	;; [unrolled: 1-line block ×3, first 2 shown]
	v_mul_f16_e32 v57, v13, v119
	v_fmac_f16_e64 v59, v169, v2
	v_fma_f16 v169, v29, v3, -v183
	v_fma_f16 v28, v28, v10, -v186
	v_fmac_f16_e64 v64, v165, v10
	v_fma_f16 v155, v155, v11, -v187
	v_fmac_f16_e64 v54, v148, v7
	v_sub_f16_e64 v148, v163, v65
	v_add_f16_e32 v24, v24, v58
	v_add_f16_e32 v23, v23, v34
	v_mul_f16_e32 v56, v17, v111
	v_mul_f16_e32 v48, v37, v116
	v_mul_f16_e64 v197, v158, v118
	v_mul_f16_e64 v198, v160, v120
	;; [unrolled: 1-line block ×3, first 2 shown]
	v_fma_f16 v27, v27, v9, -v185
	v_fmac_f16_e64 v63, v166, v9
	v_fmac_f16_e64 v50, v151, v5
	v_fma_f16 v29, v17, v0, -v191
	v_fmac_f16_e64 v55, v147, v1
	v_fmac_f16_e64 v52, v152, v2
	v_fma_f16 v17, v37, v9, -v196
	v_fmac_f16_e64 v57, v149, v4
	v_add_f16_e64 v37, v176, v155
	v_sub_f16_e64 v147, v176, v155
	v_add_f16_e64 v149, v35, v28
	v_sub_f16_e64 v151, v35, v28
	v_sub_f16_e64 v152, v162, v64
	v_mul_f16_e64 v35, 0xb770, v148
	v_mul_f16_e64 v166, 0xba95, v148
	v_add_f16_e32 v24, v24, v59
	v_add_f16_e64 v23, v23, v169
	v_mul_f16_e32 v47, v38, v118
	v_mul_f16_e64 v46, v156, v120
	v_fmac_f16_e64 v62, v167, v8
	v_fma_f16 v31, v16, v7, -v190
	v_fmac_f16_e64 v56, v153, v0
	v_fmac_f16_e64 v51, v150, v3
	;; [unrolled: 1-line block ×3, first 2 shown]
	v_fma_f16 v16, v38, v10, -v197
	v_fma_f16 v15, v156, v11, -v198
	v_add_f16_e64 v38, v163, v65
	v_add_f16_e64 v150, v162, v64
	;; [unrolled: 1-line block ×3, first 2 shown]
	v_sub_f16_e64 v156, v36, v27
	v_sub_f16_e64 v157, v161, v63
	v_mul_f16_e64 v162, 0xb770, v147
	v_mul_f16_e64 v167, 0xba95, v147
	;; [unrolled: 1-line block ×12, first 2 shown]
	v_fma_f16 v36, v37, 0x3b15, -v35
	v_fma_f16 v209, v37, 0x388b, -v166
	v_add_f16_e32 v24, v24, v61
	v_add_f16_e64 v23, v23, v168
	v_fmac_f16_e64 v53, v154, v6
	v_add_f16_e64 v154, v161, v63
	v_sub_f16_e64 v163, v146, v62
	v_mul_f16_e64 v179, 0xba95, v151
	v_mul_f16_e64 v181, 0xbb7b, v151
	;; [unrolled: 1-line block ×12, first 2 shown]
	v_fma_f16 v161, 0x3b15, v38, v162
	v_fmac_f16_e32 v35, 0x3b15, v37
	v_fma_f16 v162, v38, 0x3b15, -v162
	v_fma_f16 v210, 0x388b, v38, v167
	v_fmac_f16_e64 v166, 0x388b, v37
	v_fma_f16 v167, v38, 0x388b, -v167
	v_fma_f16 v211, v37, 0x2fb7, -v170
	v_fma_f16 v212, 0x2fb7, v38, v171
	v_fmac_f16_e64 v170, 0x2fb7, v37
	v_fma_f16 v171, v38, 0x2fb7, -v171
	;; [unrolled: 4-line block ×5, first 2 shown]
	v_fma_f16 v38, v149, 0x388b, -v178
	v_fma_f16 v219, v149, 0xb5ac, -v180
	v_add_f16_e32 v36, v14, v36
	v_add_f16_e64 v209, v14, v209
	v_add_f16_e32 v24, v24, v62
	v_add_f16_e32 v23, v23, v27
	v_fmac_f16_e64 v49, v159, v8
	v_fmac_f16_e64 v47, v158, v10
	;; [unrolled: 1-line block ×3, first 2 shown]
	v_add_f16_e64 v158, v173, v168
	v_add_f16_e64 v159, v146, v62
	v_sub_f16_e64 v160, v173, v168
	v_sub_f16_e64 v165, v60, v61
	v_mul_f16_e64 v189, 0xbbf1, v156
	v_mul_f16_e64 v191, 0xb3a8, v156
	;; [unrolled: 1-line block ×12, first 2 shown]
	v_fma_f16 v147, 0x388b, v150, v179
	v_fmac_f16_e64 v178, 0x388b, v149
	v_fma_f16 v179, v150, 0x388b, -v179
	v_fma_f16 v220, 0xb5ac, v150, v181
	v_fmac_f16_e64 v180, 0xb5ac, v149
	v_fma_f16 v181, v150, 0xb5ac, -v181
	v_fma_f16 v221, v149, 0xbbc4, -v182
	v_fma_f16 v222, 0xbbc4, v150, v183
	v_fmac_f16_e64 v182, 0xbbc4, v149
	v_fma_f16 v183, v150, 0xbbc4, -v183
	;; [unrolled: 4-line block ×5, first 2 shown]
	v_fma_f16 v150, v153, 0x2fb7, -v188
	v_fma_f16 v151, v153, 0xbbc4, -v190
	v_add_f16_e32 v35, v14, v35
	v_add_f16_e64 v166, v14, v166
	v_add_f16_e64 v211, v14, v211
	;; [unrolled: 1-line block ×11, first 2 shown]
	v_add_f16_e32 v36, v38, v36
	v_add_f16_e64 v146, v219, v209
	v_add_f16_e32 v24, v24, v63
	v_add_f16_e32 v23, v23, v28
	v_fma_f16 v13, v13, v4, -v199
	v_add_f16_e64 v164, v172, v169
	v_mul_f16_e64 v199, 0xbb7b, v160
	v_mul_f16_e64 v208, 0xb94e, v165
	v_fmac_f16_e64 v188, 0x2fb7, v153
	v_fmac_f16_e64 v190, 0xbbc4, v153
	v_fma_f16 v229, v153, 0xb5ac, -v192
	v_fmac_f16_e64 v192, 0xb5ac, v153
	v_fma_f16 v230, v153, 0x3b15, -v194
	;; [unrolled: 2-line block ×4, first 2 shown]
	v_fmac_f16_e64 v157, 0xb9fd, v153
	v_fma_f16 v153, 0x2fb7, v154, v189
	v_fma_f16 v189, v154, 0x2fb7, -v189
	v_fma_f16 v233, 0xbbc4, v154, v191
	v_fma_f16 v191, v154, 0xbbc4, -v191
	;; [unrolled: 2-line block ×6, first 2 shown]
	v_fma_f16 v156, v158, 0xb5ac, -v198
	v_fma_f16 v239, v158, 0xb9fd, -v200
	v_add_f16_e64 v161, v145, v162
	v_add_f16_e64 v162, v145, v210
	;; [unrolled: 1-line block ×6, first 2 shown]
	v_add_f16_e32 v24, v24, v64
	v_add_f16_e64 v27, v23, v155
	v_sub_f16_e64 v23, v172, v169
	v_mul_f16_e64 v201, 0x394e, v160
	v_mul_f16_e64 v203, 0x3770, v160
	;; [unrolled: 1-line block ×5, first 2 shown]
	v_fma_f16 v238, 0xb5ac, v159, v199
	v_add_f16_e64 v167, v145, v167
	v_add_f16_e64 v210, v145, v212
	;; [unrolled: 1-line block ×15, first 2 shown]
	v_fma_f16 v65, v164, 0xb9fd, -v208
	v_add_f16_e32 v60, v60, v61
	v_mul_f16_e32 v61, 0xb94e, v23
	v_fma_f16 v199, v159, 0xb5ac, -v199
	v_fma_f16 v240, 0xb9fd, v159, v201
	v_add_f16_e64 v148, v180, v166
	v_add_f16_e64 v161, v181, v167
	;; [unrolled: 1-line block ×5, first 2 shown]
	v_fma_f16 v24, v159, 0x388b, -v160
	v_add_f16_e32 v36, v65, v36
	v_fmamk_f16 v65, v60, 0xb9fd, v61
	v_mul_f16_e64 v155, 0x3bf1, v23
	v_mul_f16_e64 v202, 0x3770, v163
	;; [unrolled: 1-line block ×5, first 2 shown]
	v_fmac_f16_e64 v200, 0xb9fd, v158
	v_fma_f16 v201, v159, 0xb9fd, -v201
	v_add_f16_e64 v162, v221, v211
	v_add_f16_e64 v166, v222, v210
	;; [unrolled: 1-line block ×7, first 2 shown]
	v_add_f16_e32 v24, v24, v37
	v_mul_f16_e64 v37, 0x3bf1, v165
	v_fma_f16 v61, v60, 0xb9fd, -v61
	v_add_f16_e32 v38, v65, v38
	v_fma_f16 v65, 0x2fb7, v60, v155
	v_fmac_f16_e64 v198, 0xb5ac, v158
	v_fma_f16 v241, v158, 0x3b15, -v202
	v_fma_f16 v242, 0x3b15, v159, v203
	v_fmac_f16_e64 v202, 0x3b15, v158
	v_fma_f16 v243, v158, 0x2fb7, -v204
	v_fmac_f16_e64 v204, 0x2fb7, v158
	v_fma_f16 v245, v158, 0xbbc4, -v206
	;; [unrolled: 2-line block ×3, first 2 shown]
	v_add_f16_e64 v170, v183, v171
	v_add_f16_e64 v171, v223, v213
	;; [unrolled: 1-line block ×9, first 2 shown]
	v_fmac_f16_e64 v163, 0x388b, v158
	v_fma_f16 v158, v164, 0x2fb7, -v37
	v_add_f16_e64 v61, v61, v145
	v_mul_f16_e64 v145, 0xba95, v165
	v_fmac_f16_e64 v37, 0x2fb7, v164
	v_fma_f16 v155, v60, 0x2fb7, -v155
	v_add_f16_e64 v65, v65, v147
	v_mul_f16_e64 v147, 0xba95, v23
	v_fma_f16 v203, v159, 0x3b15, -v203
	v_add_f16_e64 v35, v178, v35
	v_add_f16_e64 v173, v224, v212
	;; [unrolled: 1-line block ×11, first 2 shown]
	v_fma_f16 v158, v164, 0x388b, -v145
	v_add_f16_e64 v37, v37, v148
	v_add_f16_e64 v148, v155, v149
	v_mul_f16_e64 v149, 0x33a8, v165
	v_fma_f16 v155, 0x388b, v60, v147
	v_fmac_f16_e64 v145, 0x388b, v164
	v_fma_f16 v244, 0x2fb7, v159, v205
	v_fma_f16 v205, v159, 0x2fb7, -v205
	v_add_f16_e64 v177, v187, v177
	v_add_f16_e64 v180, v227, v217
	;; [unrolled: 1-line block ×10, first 2 shown]
	v_fma_f16 v147, v60, 0x388b, -v147
	v_fma_f16 v158, v164, 0xbbc4, -v149
	v_add_f16_e64 v151, v155, v151
	v_mul_f16_e64 v155, 0x33a8, v23
	v_add_f16_e64 v152, v145, v152
	v_mul_f16_e64 v145, 0x3770, v165
	v_fmac_f16_e64 v149, 0xbbc4, v164
	v_fma_f16 v246, 0xbbc4, v159, v207
	v_fma_f16 v207, v159, 0xbbc4, -v207
	v_fma_f16 v248, 0x388b, v159, v160
	v_add_f16_e64 v174, v197, v177
	v_add_f16_e64 v175, v232, v180
	;; [unrolled: 1-line block ×7, first 2 shown]
	v_fma_f16 v156, 0xbbc4, v60, v155
	v_mul_f16_e64 v158, 0x3770, v23
	v_fma_f16 v155, v60, 0xbbc4, -v155
	v_fma_f16 v159, v164, 0x3b15, -v145
	v_add_f16_e64 v149, v149, v157
	v_mul_f16_e64 v157, 0xbb7b, v165
	v_add_f16_e64 v28, v207, v174
	v_add_f16_e64 v64, v247, v175
	v_add_f16_e64 v62, v156, v62
	v_fma_f16 v156, 0x3b15, v60, v158
	v_add_f16_e64 v155, v155, v161
	v_add_f16_e64 v63, v159, v63
	v_fma_f16 v158, v60, 0x3b15, -v158
	v_fma_f16 v159, v164, 0xb5ac, -v157
	v_sub_f16_e64 v161, v58, v59
	v_add_f16_e64 v179, v226, v214
	v_add_f16_e64 v176, v186, v176
	;; [unrolled: 1-line block ×5, first 2 shown]
	v_mul_f16_e64 v28, 0xb3a8, v161
	v_sub_f16_e32 v33, v33, v34
	v_add_f16_e64 v181, v228, v216
	v_add_f16_e64 v171, v236, v179
	;; [unrolled: 1-line block ×3, first 2 shown]
	v_fma_f16 v34, v159, 0xbbc4, -v28
	v_add_f16_e32 v58, v58, v59
	v_mul_f16_e32 v59, 0xb3a8, v33
	v_add_f16_e64 v35, v188, v35
	v_add_f16_e64 v176, v237, v181
	;; [unrolled: 1-line block ×4, first 2 shown]
	v_fmac_f16_e64 v145, 0x3b15, v164
	v_mul_f16_e32 v23, 0xbb7b, v23
	v_add_f16_e64 v171, v34, v36
	v_fmamk_f16 v34, v58, 0xbbc4, v59
	v_fma_f16 v36, v58, 0xbbc4, -v59
	v_mul_f16_e32 v59, 0x3770, v33
	v_add_f16_e64 v35, v198, v35
	v_add_f16_e64 v167, v248, v176
	v_fmac_f16_e64 v208, 0xb9fd, v164
	v_add_f16_e64 v160, v145, v166
	v_fma_f16 v145, 0xb5ac, v60, v23
	v_fma_f16 v23, v60, 0xb5ac, -v23
	v_add_f16_e64 v175, v34, v38
	v_fmamk_f16 v34, v58, 0x3b15, v59
	v_add_f16_e64 v35, v208, v35
	v_add_f16_e64 v156, v156, v162
	;; [unrolled: 1-line block ×3, first 2 shown]
	v_add_f16_e32 v23, v23, v24
	v_mul_f16_e64 v24, 0x3770, v161
	v_fmac_f16_e64 v28, 0xbbc4, v159
	v_add_f16_e64 v145, v36, v61
	v_fma_f16 v36, v58, 0x3b15, -v59
	v_add_f16_e64 v179, v34, v65
	v_mul_f16_e32 v34, 0xb94e, v33
	v_fma_f16 v60, v159, 0x3b15, -v24
	v_add_f16_e32 v28, v28, v35
	v_mul_f16_e64 v35, 0xb94e, v161
	v_fmac_f16_e64 v24, 0x3b15, v159
	v_add_f16_e64 v148, v36, v148
	v_fmamk_f16 v36, v58, 0xb9fd, v34
	v_fma_f16 v34, v58, 0xb9fd, -v34
	v_fma_f16 v38, v159, 0xb9fd, -v35
	v_add_f16_e64 v185, v24, v37
	v_mul_f16_e64 v24, 0x3a95, v161
	v_fmac_f16_e64 v35, 0xb9fd, v159
	v_add_f16_e64 v151, v36, v151
	v_mul_f16_e32 v36, 0x3a95, v33
	v_add_f16_e64 v14, v163, v14
	v_fma_f16 v37, v159, 0x388b, -v24
	v_add_f16_e64 v189, v35, v152
	v_fmac_f16_e64 v157, 0xb5ac, v164
	v_fmamk_f16 v35, v58, 0x388b, v36
	v_add_f16_e64 v147, v34, v147
	v_add_f16_e64 v188, v37, v153
	v_mul_f16_e64 v34, 0xbb7b, v161
	v_fmac_f16_e64 v24, 0x388b, v159
	v_fma_f16 v36, v58, 0x388b, -v36
	v_mul_f16_e32 v37, 0xbb7b, v33
	v_add_f16_e64 v191, v35, v62
	v_mul_f16_e64 v35, 0x3bf1, v161
	v_add_f16_e64 v14, v157, v14
	v_add_f16_e64 v150, v38, v150
	v_fma_f16 v38, v159, 0xb5ac, -v34
	v_add_f16_e64 v149, v24, v149
	v_add_f16_e64 v197, v36, v155
	v_fmamk_f16 v24, v58, 0xb5ac, v37
	v_fmac_f16_e64 v34, 0xb5ac, v159
	v_mul_f16_e32 v33, 0x3bf1, v33
	v_fma_f16 v36, v159, 0x2fb7, -v35
	v_fmac_f16_e64 v35, 0x2fb7, v159
	v_sub_f16_e64 v177, v57, v46
	v_add_f16_e64 v196, v24, v156
	v_fma_f16 v24, v58, 0xb5ac, -v37
	v_add_f16_e64 v200, v34, v160
	v_fmamk_f16 v34, v58, 0x2fb7, v33
	v_add_f16_e64 v207, v35, v14
	v_sub_f16_e32 v14, v13, v15
	v_add_f16_e64 v178, v13, v15
	v_mul_f16_e64 v167, 0xb770, v177
	v_add_f16_e64 v203, v24, v158
	v_add_f16_e64 v206, v34, v162
	v_fma_f16 v24, v58, 0x2fb7, -v33
	v_add_f16_e32 v33, v57, v46
	v_fma_f16 v34, 0x3b15, v178, v167
	v_mul_f16_e64 v155, 0xba95, v14
	v_add_f16_e64 v176, v60, v154
	v_add_f16_e64 v194, v38, v63
	v_mul_f16_e64 v192, 0xbbf1, v177
	v_add_f16_e32 v38, v12, v34
	v_fma_f16 v34, v33, 0x388b, -v155
	v_mul_f16_e64 v160, 0xbbf1, v14
	v_mul_f16_e32 v60, 0xbb7b, v14
	v_add_f16_e64 v205, v36, v64
	v_fma_f16 v35, 0x2fb7, v178, v192
	v_add_f16_e32 v58, v44, v34
	v_mul_f16_e64 v198, 0xbb7b, v177
	v_fma_f16 v34, v33, 0x2fb7, -v160
	v_mul_f16_e64 v210, 0xb94e, v177
	v_fma_f16 v36, v33, 0xb5ac, -v60
	v_add_f16_e32 v59, v12, v35
	v_fma_f16 v35, 0xb5ac, v178, v198
	v_add_f16_e32 v61, v44, v34
	v_mul_f16_e32 v64, 0xb94e, v14
	v_fma_f16 v34, 0xb9fd, v178, v210
	v_add_f16_e32 v63, v44, v36
	v_sub_f16_e32 v36, v50, v47
	v_mul_f16_e64 v164, 0xb770, v14
	v_mul_f16_e64 v182, 0xba95, v177
	v_add_f16_e32 v62, v12, v35
	v_fma_f16 v37, v33, 0xb9fd, -v64
	v_add_f16_e64 v152, v12, v34
	v_sub_f16_e32 v35, v32, v16
	v_add_f16_e32 v34, v32, v16
	v_mul_f16_e64 v170, 0xba95, v36
	v_add_f16_e64 v208, v24, v23
	v_fma_f16 v23, v33, 0x3b15, -v164
	v_fma_f16 v24, 0x388b, v178, v182
	v_add_f16_e64 v153, v44, v37
	v_add_f16_e32 v37, v50, v47
	v_mul_f16_e64 v172, 0xba95, v35
	v_mul_f16_e64 v161, 0xbb7b, v36
	v_fma_f16 v65, 0x388b, v34, v170
	v_mul_f16_e64 v163, 0xb3a8, v36
	v_add_f16_e32 v23, v44, v23
	v_add_f16_e32 v24, v12, v24
	v_mul_f16_e64 v162, 0xbb7b, v35
	v_fma_f16 v154, v37, 0x388b, -v172
	v_fma_f16 v156, 0xb5ac, v34, v161
	v_add_f16_e64 v184, v65, v38
	v_fma_f16 v65, 0xbbc4, v34, v163
	v_fma_f16 v38, v37, 0xb5ac, -v162
	v_add_f16_e64 v187, v154, v23
	v_add_f16_e64 v23, v156, v24
	v_mul_f16_e64 v166, 0xb3a8, v35
	v_add_f16_e32 v24, v65, v59
	v_mul_f16_e32 v65, 0x394e, v36
	v_add_f16_e64 v190, v38, v58
	v_mul_f16_e64 v154, 0x394e, v35
	v_fma_f16 v38, v37, 0xbbc4, -v166
	v_mul_f16_e64 v158, 0x3bf1, v36
	v_fmamk_f16 v58, v34, 0xb9fd, v65
	v_mul_f16_e64 v159, 0x3bf1, v35
	v_fma_f16 v59, v37, 0xb9fd, -v154
	v_add_f16_e64 v193, v38, v61
	v_fma_f16 v38, 0x2fb7, v34, v158
	v_add_f16_e64 v199, v58, v62
	v_sub_f16_e32 v58, v53, v48
	v_fma_f16 v61, v37, 0x2fb7, -v159
	v_add_f16_e64 v202, v59, v63
	v_add_f16_e64 v209, v38, v152
	v_add_f16_e32 v38, v30, v17
	v_mul_f16_e64 v165, 0xb3a8, v58
	v_mul_f16_e64 v168, 0x3b7b, v58
	v_sub_f16_e32 v63, v54, v49
	v_add_f16_e64 v211, v61, v153
	v_add_f16_e32 v61, v31, v18
	v_fma_f16 v152, 0xbbc4, v38, v165
	v_fma_f16 v156, 0xb5ac, v38, v168
	v_mul_f16_e64 v173, 0x3770, v63
	v_sub_f16_e64 v153, v56, v51
	v_sub_f16_e32 v59, v30, v17
	v_add_f16_e64 v23, v152, v23
	v_add_f16_e64 v24, v156, v24
	v_fma_f16 v181, 0x3b15, v61, v173
	v_add_f16_e64 v152, v29, v19
	v_mul_f16_e64 v180, 0xba95, v153
	v_mul_f16_e64 v186, 0xbbf1, v58
	;; [unrolled: 1-line block ×3, first 2 shown]
	v_add_f16_e64 v24, v181, v24
	v_add_f16_e32 v62, v53, v48
	v_fma_f16 v201, 0x388b, v152, v180
	v_mul_f16_e64 v174, 0x3bf1, v153
	v_fma_f16 v156, 0xb9fd, v61, v169
	v_sub_f16_e64 v157, v55, v52
	v_fma_f16 v212, 0x2fb7, v38, v186
	v_add_f16_e64 v201, v201, v24
	v_mul_f16_e64 v204, 0xbbf1, v59
	v_lshrrev_b32_e32 v24, 2, v99
	v_add_f16_e64 v23, v156, v23
	v_fma_f16 v195, 0x2fb7, v152, v174
	v_add_f16_e64 v156, v26, v25
	v_mul_f16_e64 v181, 0x3770, v157
	v_mul_f16_e64 v183, 0xb94e, v157
	v_add_f16_e64 v212, v212, v184
	v_fma_f16 v184, v62, 0x2fb7, -v204
	v_mul_u32_u24_e32 v214, 52, v24
	v_add_f16_e64 v23, v195, v23
	v_fma_f16 v195, 0x3b15, v156, v181
	v_fma_f16 v213, 0xb9fd, v156, v183
	v_add_f16_e64 v216, v184, v187
	v_or_b32_e32 v184, v214, v108
	v_pack_b32_f16 v27, v27, v146
	v_add_f16_e64 v24, v195, v23
	v_add_f16_e64 v23, v213, v201
	v_pack_b32_f16 v171, v171, v175
	v_mul_f16_e64 v201, 0x3b7b, v59
	v_lshlrev_b32_e32 v146, 2, v184
	v_mul_f16_e64 v184, 0x3770, v58
	v_mul_f16_e64 v195, 0xb3a8, v59
	;; [unrolled: 1-line block ×3, first 2 shown]
	v_fma_f16 v175, v62, 0xb5ac, -v201
	ds_store_2addr_b32 v146, v27, v171 offset1:4
	v_fma_f16 v171, 0x3b15, v38, v184
	v_fma_f16 v213, v62, 0xbbc4, -v195
	v_pack_b32_f16 v150, v150, v151
	v_add_f16_e64 v214, v175, v193
	v_fma_f16 v175, v62, 0x3b15, -v187
	v_add_f16_e64 v151, v171, v199
	v_mul_f16_e64 v193, 0xba95, v59
	v_sub_f16_e64 v171, v31, v18
	v_add_f16_e64 v27, v213, v190
	v_pack_b32_f16 v176, v176, v179
	v_mul_f16_e64 v190, 0xba95, v58
	v_add_f16_e64 v179, v175, v202
	v_fma_f16 v202, v62, 0x388b, -v193
	v_add_f16_e64 v175, v54, v49
	v_mul_f16_e64 v215, 0xbb7b, v171
	v_fma_f16 v199, 0x388b, v38, v190
	ds_store_2addr_b32 v146, v176, v150 offset0:8 offset1:12
	v_add_f16_e64 v211, v202, v211
	v_pack_b32_f16 v188, v188, v191
	v_fma_f16 v176, v175, 0xb5ac, -v215
	v_pack_b32_f16 v194, v194, v196
	v_mul_f16_e64 v202, 0x394e, v171
	v_add_f16_e64 v150, v199, v209
	v_mul_f16_e64 v209, 0x3770, v171
	v_add_f16_e64 v220, v176, v216
	ds_store_2addr_b32 v146, v188, v194 offset0:16 offset1:20
	v_fma_f16 v176, v175, 0xb9fd, -v202
	v_mul_f16_e64 v194, 0xbbf1, v171
	v_fma_f16 v188, v175, 0x3b15, -v209
	v_mul_f16_e64 v196, 0x33a8, v63
	v_mul_f16_e64 v213, 0xbb7b, v63
	v_add_f16_e64 v27, v176, v27
	v_fma_f16 v176, v175, 0x2fb7, -v194
	v_mul_f16_e64 v191, 0xbbf1, v63
	v_add_f16_e64 v214, v188, v214
	v_fma_f16 v188, 0xbbc4, v61, v196
	v_fma_f16 v217, 0xb5ac, v61, v213
	v_add_f16_e64 v179, v176, v179
	v_sub_f16_e64 v176, v29, v19
	v_fma_f16 v199, 0x2fb7, v61, v191
	v_add_f16_e64 v150, v188, v150
	v_add_f16_e64 v188, v56, v51
	v_add_f16_e64 v217, v217, v212
	v_mul_f16_e64 v219, 0xb94e, v176
	v_add_f16_e64 v151, v199, v151
	v_mul_f16_e64 v199, 0x33a8, v171
	v_pack_b32_f16 v224, v200, v203
	v_mul_f16_e64 v212, 0x3bf1, v176
	v_mul_f16_e64 v216, 0xba95, v176
	v_fma_f16 v203, v188, 0xb9fd, -v219
	v_pack_b32_f16 v222, v205, v206
	v_pack_b32_f16 v223, v207, v208
	v_fma_f16 v205, v175, 0xbbc4, -v199
	v_mul_f16_e64 v218, 0xb94e, v153
	v_pack_b32_f16 v225, v149, v197
	v_fma_f16 v206, v188, 0x2fb7, -v212
	v_fma_f16 v207, v188, 0x388b, -v216
	v_mul_f16_e64 v197, 0x33a8, v153
	v_add_f16_e64 v208, v203, v220
	v_mul_f16_e64 v203, 0x3770, v153
	v_pack_b32_f16 v228, v185, v148
	v_sub_f16_e64 v185, v26, v25
	v_fma_f16 v149, 0xb9fd, v152, v218
	v_add_f16_e64 v205, v205, v211
	v_mul_f16_e64 v200, 0x33a8, v176
	v_add_f16_e64 v27, v206, v27
	v_add_f16_e64 v226, v207, v214
	v_fma_f16 v206, 0xbbc4, v152, v197
	v_pack_b32_f16 v227, v189, v147
	v_fma_f16 v148, 0x3b15, v152, v203
	v_mul_f16_e64 v211, 0x3770, v176
	v_add_f16_e64 v189, v55, v52
	v_mul_f16_e64 v221, 0xb3a8, v185
	v_mul_f16_e64 v214, 0x3770, v185
	v_add_f16_e64 v149, v149, v217
	v_fma_f16 v207, v188, 0xbbc4, -v200
	v_add_f16_e64 v229, v206, v151
	v_mul_f16_e64 v220, 0xb3a8, v157
	v_fma_f16 v151, v188, 0x3b15, -v211
	v_add_f16_e64 v230, v148, v150
	v_fma_f16 v148, v189, 0xbbc4, -v221
	v_fma_f16 v206, v189, 0x3b15, -v214
	v_mul_f16_e64 v217, 0xb94e, v185
	v_add_f16_e64 v147, v207, v179
	v_fma_f16 v179, 0xbbc4, v156, v220
	v_add_f16_e64 v231, v151, v205
	v_add_f16_e64 v151, v148, v208
	;; [unrolled: 1-line block ×3, first 2 shown]
	v_mul_f16_e64 v206, 0x3a95, v185
	v_mul_f16_e64 v205, 0xbb7b, v157
	v_fma_f16 v27, v189, 0xb9fd, -v217
	v_mul_f16_e64 v208, 0xbb7b, v185
	v_mul_f16_e64 v207, 0x3a95, v157
	v_add_f16_e64 v150, v179, v149
	v_fma_f16 v179, v189, 0x388b, -v206
	v_fma_f16 v232, 0xb5ac, v156, v205
	v_add_f16_e64 v149, v27, v226
	v_fma_f16 v226, v189, 0xb5ac, -v208
	v_fma_f16 v233, 0x388b, v156, v207
	v_add_f16_e64 v147, v179, v147
	v_add_f16_e64 v27, v232, v230
	v_pack_b32_f16 v230, v28, v145
	v_add_f16_e64 v179, v226, v231
	v_add_f16_e64 v28, v233, v229
	v_lshrrev_b32_e32 v145, 2, v45
	ds_store_2addr_b32 v146, v222, v223 offset0:24 offset1:28
	ds_store_2addr_b32 v146, v224, v225 offset0:32 offset1:36
	;; [unrolled: 1-line block ×3, first 2 shown]
	ds_store_b32 v146, v230 offset:192
	s_and_saveexec_b32 s1, s0
	s_cbranch_execz .LBB0_15
; %bb.14:
	v_add_f16_e32 v13, v12, v13
	v_mul_f16_e64 v45, 0xb9fd, v178
	v_mul_f16_e64 v177, 0xb3a8, v177
	s_delay_alu instid0(VALU_DEP_3) | instskip(SKIP_1) | instid1(VALU_DEP_4)
	v_add_f16_e32 v13, v13, v32
	v_add_f16_e32 v32, v44, v57
	v_sub_f16_e64 v45, v45, v210
	v_mul_f16_e64 v210, 0xb5ac, v178
	s_delay_alu instid0(VALU_DEP_4) | instskip(NEXT) | instid1(VALU_DEP_4)
	v_add_f16_e32 v13, v13, v30
	v_add_f16_e32 v32, v32, v50
	s_delay_alu instid0(VALU_DEP_4) | instskip(NEXT) | instid1(VALU_DEP_4)
	v_add_f16_e32 v45, v12, v45
	v_sub_f16_e64 v198, v210, v198
	v_mul_f16_e64 v210, 0x2fb7, v178
	v_add_f16_e32 v13, v13, v31
	v_add_f16_e32 v30, v32, v53
	v_mul_f16_e32 v31, 0x3b15, v33
	v_mul_f16_e32 v32, 0x388b, v34
	v_sub_f16_e64 v192, v210, v192
	v_add_f16_e32 v13, v13, v29
	v_add_f16_e32 v30, v30, v54
	v_add_f16_e64 v31, v164, v31
	v_mul_f16_e32 v29, 0x388b, v37
	v_mul_f16_e64 v210, 0x388b, v178
	v_add_f16_e32 v13, v13, v26
	v_add_f16_e32 v30, v30, v56
	;; [unrolled: 1-line block ×3, first 2 shown]
	v_add_f16_e64 v29, v172, v29
	v_sub_f16_e64 v182, v210, v182
	v_fma_f16 v210, 0xbbc4, v178, v177
	v_fma_f16 v177, v178, 0xbbc4, -v177
	v_mul_f16_e64 v178, 0x3b15, v178
	v_add_f16_e32 v26, v29, v26
	v_add_f16_e32 v29, v30, v55
	v_mul_f16_e32 v30, 0x2fb7, v62
	v_add_f16_e32 v13, v13, v25
	v_sub_f16_e64 v167, v178, v167
	v_add_f16_e64 v178, v12, v210
	v_add_f16_e64 v177, v12, v177
	;; [unrolled: 1-line block ×7, first 2 shown]
	v_sub_f16_e64 v32, v32, v170
	v_mul_f16_e32 v25, 0x2fb7, v38
	v_add_f16_e32 v29, v29, v52
	v_add_f16_e32 v26, v30, v26
	v_mul_f16_e64 v30, 0xb5ac, v175
	v_add_f16_e32 v13, v13, v19
	v_add_f16_e32 v12, v32, v12
	v_sub_f16_e64 v25, v25, v186
	v_add_f16_e32 v19, v29, v51
	v_add_f16_e64 v30, v215, v30
	v_add_f16_e32 v13, v13, v18
	v_mul_f16_e64 v18, 0xb9fd, v188
	v_add_f16_e32 v12, v25, v12
	v_mul_f16_e32 v25, 0xb5ac, v61
	v_add_f16_e32 v26, v30, v26
	v_add_f16_e32 v19, v19, v49
	v_add_f16_e64 v18, v219, v18
	v_add_f16_e32 v13, v13, v17
	v_sub_f16_e64 v25, v25, v213
	v_mul_f16_e32 v29, 0xb5ac, v33
	v_mul_f16_e32 v30, 0xb9fd, v37
	v_add_f16_e32 v17, v18, v26
	v_add_f16_e32 v18, v19, v48
	;; [unrolled: 1-line block ×3, first 2 shown]
	v_mul_f16_e64 v25, 0xb9fd, v152
	v_add_f16_e32 v13, v13, v16
	v_mul_f16_e64 v19, 0xbbc4, v189
	v_add_f16_e32 v16, v18, v47
	v_mul_f16_e64 v18, 0xbbc4, v156
	v_sub_f16_e64 v25, v25, v218
	v_add_f16_e32 v13, v13, v15
	v_add_f16_e64 v19, v221, v19
	v_add_f16_e32 v15, v16, v46
	v_sub_f16_e64 v18, v18, v220
	v_add_f16_e32 v12, v25, v12
	v_mul_f16_e32 v16, 0xbbc4, v34
	v_add_f16_e32 v17, v19, v17
	v_pack_b32_f16 v13, v13, v15
	v_mul_u32_u24_e32 v15, 52, v145
	v_add_f16_e32 v12, v18, v12
	v_mul_f16_e32 v18, 0xb5ac, v37
	v_sub_f16_e64 v16, v16, v163
	v_mul_f16_e32 v19, 0xb5ac, v34
	v_or_b32_e32 v15, v15, v108
	v_pack_b32_f16 v12, v12, v17
	v_mul_f16_e32 v17, 0x388b, v33
	v_add_f16_e64 v18, v162, v18
	v_sub_f16_e64 v19, v19, v161
	v_lshlrev_b32_e32 v15, 2, v15
	v_mul_f16_e32 v25, 0xbbc4, v38
	v_add_f16_e64 v17, v155, v17
	v_mul_f16_e64 v26, 0xb9fd, v189
	v_add_f16_e64 v19, v19, v182
	ds_store_2addr_b32 v15, v13, v12 offset1:4
	v_mul_f16_e32 v12, 0x2fb7, v33
	v_mul_f16_e32 v13, 0xbbc4, v37
	v_add_f16_e32 v17, v44, v17
	v_sub_f16_e64 v25, v25, v165
	v_add_f16_e64 v26, v217, v26
	v_add_f16_e64 v12, v160, v12
	;; [unrolled: 1-line block ×3, first 2 shown]
	v_add_f16_e32 v17, v18, v17
	v_mul_f16_e32 v18, 0xbbc4, v62
	v_add_f16_e32 v19, v25, v19
	v_add_f16_e32 v12, v44, v12
	v_mul_f16_e32 v25, 0xb9fd, v61
	v_add_f16_e32 v29, v60, v29
	v_add_f16_e64 v18, v195, v18
	v_add_f16_e64 v30, v154, v30
	v_add_f16_e32 v12, v13, v12
	v_mul_f16_e32 v13, 0xb5ac, v62
	v_sub_f16_e64 v25, v25, v169
	v_add_f16_e32 v17, v18, v17
	v_mul_f16_e64 v18, 0xb9fd, v175
	v_add_f16_e32 v29, v44, v29
	v_add_f16_e64 v13, v201, v13
	s_delay_alu instid0(VALU_DEP_3) | instskip(NEXT) | instid1(VALU_DEP_3)
	v_add_f16_e64 v18, v202, v18
	v_add_f16_e32 v29, v30, v29
	s_delay_alu instid0(VALU_DEP_3) | instskip(SKIP_4) | instid1(VALU_DEP_4)
	v_add_f16_e32 v12, v13, v12
	v_mul_f16_e64 v13, 0x3b15, v175
	v_mul_f16_e32 v30, 0x3b15, v62
	v_add_f16_e32 v17, v18, v17
	v_mul_f16_e64 v18, 0x2fb7, v188
	v_add_f16_e64 v13, v209, v13
	s_delay_alu instid0(VALU_DEP_4) | instskip(NEXT) | instid1(VALU_DEP_3)
	v_add_f16_e64 v30, v187, v30
	v_add_f16_e64 v18, v212, v18
	s_delay_alu instid0(VALU_DEP_3) | instskip(SKIP_1) | instid1(VALU_DEP_1)
	v_add_f16_e32 v12, v13, v12
	v_mul_f16_e64 v13, 0x388b, v188
	v_add_f16_e64 v13, v216, v13
	s_delay_alu instid0(VALU_DEP_1) | instskip(SKIP_2) | instid1(VALU_DEP_3)
	v_add_f16_e32 v12, v13, v12
	v_add_f16_e64 v13, v16, v192
	v_mul_f16_e32 v16, 0xb5ac, v38
	v_add_f16_e32 v12, v26, v12
	v_mul_f16_e32 v26, 0x388b, v38
	s_delay_alu instid0(VALU_DEP_3) | instskip(NEXT) | instid1(VALU_DEP_2)
	v_sub_f16_e64 v16, v16, v168
	v_sub_f16_e64 v26, v26, v190
	s_delay_alu instid0(VALU_DEP_2) | instskip(SKIP_1) | instid1(VALU_DEP_1)
	v_add_f16_e32 v13, v16, v13
	v_mul_f16_e32 v16, 0x3b15, v61
	v_sub_f16_e64 v16, v16, v173
	s_delay_alu instid0(VALU_DEP_1) | instskip(SKIP_1) | instid1(VALU_DEP_1)
	v_add_f16_e32 v13, v16, v13
	v_mul_f16_e64 v16, 0x388b, v152
	v_sub_f16_e64 v16, v16, v180
	s_delay_alu instid0(VALU_DEP_1)
	v_add_f16_e32 v13, v16, v13
	v_add_f16_e32 v16, v18, v17
	v_mul_f16_e64 v18, 0x2fb7, v152
	v_add_f16_e32 v17, v25, v19
	v_mul_f16_e64 v19, 0x3b15, v189
	v_mul_f16_e64 v25, 0xb9fd, v156
	s_delay_alu instid0(VALU_DEP_4) | instskip(NEXT) | instid1(VALU_DEP_3)
	v_sub_f16_e64 v18, v18, v174
	v_add_f16_e64 v19, v214, v19
	s_delay_alu instid0(VALU_DEP_3) | instskip(NEXT) | instid1(VALU_DEP_3)
	v_sub_f16_e64 v25, v25, v183
	v_add_f16_e32 v17, v18, v17
	v_mul_f16_e64 v18, 0x3b15, v156
	s_delay_alu instid0(VALU_DEP_4) | instskip(SKIP_4) | instid1(VALU_DEP_4)
	v_add_f16_e32 v16, v19, v16
	v_mul_f16_e32 v19, 0x2fb7, v37
	v_add_f16_e32 v13, v25, v13
	v_mul_f16_e32 v25, 0x2fb7, v34
	v_sub_f16_e64 v18, v18, v181
	v_add_f16_e64 v19, v159, v19
	s_delay_alu instid0(VALU_DEP_4) | instskip(NEXT) | instid1(VALU_DEP_4)
	v_pack_b32_f16 v12, v13, v12
	v_sub_f16_e64 v25, v25, v158
	s_delay_alu instid0(VALU_DEP_4) | instskip(SKIP_1) | instid1(VALU_DEP_3)
	v_add_f16_e32 v17, v18, v17
	v_mul_f16_e32 v18, 0xb9fd, v33
	v_add_f16_e32 v25, v25, v45
	s_delay_alu instid0(VALU_DEP_3) | instskip(NEXT) | instid1(VALU_DEP_3)
	v_pack_b32_f16 v16, v17, v16
	v_add_f16_e32 v18, v64, v18
	s_delay_alu instid0(VALU_DEP_3) | instskip(SKIP_1) | instid1(VALU_DEP_3)
	v_add_f16_e32 v25, v26, v25
	v_mul_f16_e32 v26, 0xbbc4, v61
	v_add_f16_e32 v18, v44, v18
	ds_store_2addr_b32 v15, v16, v12 offset0:8 offset1:12
	v_sub_f16_e64 v26, v26, v196
	v_add_f16_e32 v18, v19, v18
	v_mul_f16_e32 v19, 0x388b, v62
	s_delay_alu instid0(VALU_DEP_3) | instskip(SKIP_1) | instid1(VALU_DEP_3)
	v_add_f16_e32 v17, v26, v25
	v_mul_f16_e32 v25, 0xb9fd, v34
	v_add_f16_e64 v19, v193, v19
	v_mul_f16_e64 v26, 0x3b15, v152
	s_delay_alu instid0(VALU_DEP_3) | instskip(NEXT) | instid1(VALU_DEP_3)
	v_sub_f16_e32 v25, v25, v65
	v_add_f16_e32 v18, v19, v18
	v_mul_f16_e64 v19, 0xbbc4, v175
	s_delay_alu instid0(VALU_DEP_4) | instskip(NEXT) | instid1(VALU_DEP_2)
	v_sub_f16_e64 v26, v26, v203
	v_add_f16_e64 v19, v199, v19
	s_delay_alu instid0(VALU_DEP_2) | instskip(SKIP_1) | instid1(VALU_DEP_3)
	v_add_f16_e32 v17, v26, v17
	v_mul_f16_e64 v26, 0x388b, v189
	v_add_f16_e32 v18, v19, v18
	v_mul_f16_e64 v19, 0x3b15, v188
	s_delay_alu instid0(VALU_DEP_3) | instskip(NEXT) | instid1(VALU_DEP_2)
	v_add_f16_e64 v26, v206, v26
	v_add_f16_e64 v19, v211, v19
	s_delay_alu instid0(VALU_DEP_1) | instskip(SKIP_4) | instid1(VALU_DEP_4)
	v_add_f16_e32 v13, v19, v18
	v_mul_f16_e64 v19, 0x2fb7, v175
	v_add_f16_e32 v18, v30, v29
	v_mul_f16_e64 v29, 0xbbc4, v188
	v_mul_f16_e64 v30, 0xb5ac, v189
	v_add_f16_e64 v19, v194, v19
	s_delay_alu instid0(VALU_DEP_3) | instskip(NEXT) | instid1(VALU_DEP_3)
	v_add_f16_e64 v29, v200, v29
	v_add_f16_e64 v30, v208, v30
	s_delay_alu instid0(VALU_DEP_3) | instskip(SKIP_2) | instid1(VALU_DEP_4)
	v_add_f16_e32 v18, v19, v18
	v_add_f16_e64 v19, v25, v198
	v_mul_f16_e32 v25, 0x3b15, v38
	v_add_f16_e32 v13, v30, v13
	s_delay_alu instid0(VALU_DEP_4) | instskip(SKIP_1) | instid1(VALU_DEP_4)
	v_add_f16_e32 v18, v29, v18
	v_mul_f16_e64 v29, 0xb5ac, v156
	v_sub_f16_e64 v25, v25, v184
	s_delay_alu instid0(VALU_DEP_3) | instskip(SKIP_1) | instid1(VALU_DEP_3)
	v_add_f16_e32 v18, v26, v18
	v_mul_f16_e32 v26, 0x3b15, v37
	v_add_f16_e32 v19, v25, v19
	v_mul_f16_e32 v25, 0x2fb7, v61
	v_mul_f16_e32 v37, 0x3a95, v63
	v_sub_f16_e64 v29, v29, v205
	v_fmamk_f16 v31, v35, 0xb770, v26
	v_fmac_f16_e32 v26, 0x3770, v35
	v_sub_f16_e64 v25, v25, v191
	v_mul_f16_e64 v35, 0xb5ac, v188
	v_add_f16_e32 v17, v29, v17
	s_delay_alu instid0(VALU_DEP_3) | instskip(SKIP_1) | instid1(VALU_DEP_3)
	v_add_f16_e32 v19, v25, v19
	v_mul_f16_e64 v25, 0xbbc4, v152
	v_pack_b32_f16 v13, v17, v13
	v_perm_b32 v17, v179, v27, 0x5040100
	s_delay_alu instid0(VALU_DEP_3) | instskip(NEXT) | instid1(VALU_DEP_1)
	v_sub_f16_e64 v25, v25, v197
	v_add_f16_e32 v19, v25, v19
	v_mul_f16_e64 v25, 0x388b, v156
	s_delay_alu instid0(VALU_DEP_1) | instskip(NEXT) | instid1(VALU_DEP_1)
	v_sub_f16_e64 v25, v25, v207
	v_add_f16_e32 v19, v25, v19
	v_mul_f16_e32 v25, 0xbbc4, v33
	s_delay_alu instid0(VALU_DEP_2) | instskip(NEXT) | instid1(VALU_DEP_2)
	v_pack_b32_f16 v12, v19, v18
	v_fmamk_f16 v30, v14, 0x33a8, v25
	v_fmac_f16_e32 v25, 0xb3a8, v14
	v_mul_f16_e32 v14, 0x3770, v36
	v_fma_f16 v36, 0x3b7b, v176, v35
	v_fmac_f16_e64 v35, 0xbb7b, v176
	v_add_f16_e32 v30, v44, v30
	v_add_f16_e32 v25, v44, v25
	v_perm_b32 v18, v147, v28, 0x5040100
	v_perm_b32 v19, v149, v23, 0x5040100
	s_delay_alu instid0(VALU_DEP_4) | instskip(SKIP_2) | instid1(VALU_DEP_2)
	v_add_f16_e32 v30, v31, v30
	v_mul_f16_e32 v31, 0xb9fd, v62
	v_add_f16_e32 v25, v26, v25
	v_fmamk_f16 v32, v59, 0x394e, v31
	v_fmac_f16_e32 v31, 0xb94e, v59
	s_delay_alu instid0(VALU_DEP_2) | instskip(SKIP_1) | instid1(VALU_DEP_3)
	v_add_f16_e32 v30, v32, v30
	v_mul_f16_e64 v32, 0x388b, v175
	v_add_f16_e32 v25, v31, v25
	s_delay_alu instid0(VALU_DEP_2) | instskip(SKIP_1) | instid1(VALU_DEP_2)
	v_fma_f16 v33, 0xba95, v171, v32
	v_fmac_f16_e64 v32, 0x3a95, v171
	v_add_f16_e32 v30, v33, v30
	v_fmamk_f16 v33, v34, 0x3b15, v14
	v_fma_f16 v14, v34, 0x3b15, -v14
	s_delay_alu instid0(VALU_DEP_4) | instskip(NEXT) | instid1(VALU_DEP_4)
	v_add_f16_e32 v25, v32, v25
	v_add_f16_e32 v30, v36, v30
	v_mul_f16_e32 v36, 0xb94e, v58
	v_add_f16_e64 v33, v33, v178
	v_add_f16_e64 v14, v14, v177
	v_add_f16_e32 v25, v35, v25
	s_delay_alu instid0(VALU_DEP_4) | instskip(SKIP_1) | instid1(VALU_DEP_2)
	v_fmamk_f16 v34, v38, 0xb9fd, v36
	v_fma_f16 v36, v38, 0xb9fd, -v36
	v_add_f16_e32 v26, v34, v33
	v_fmamk_f16 v33, v61, 0x388b, v37
	v_mul_f16_e64 v34, 0xbb7b, v153
	s_delay_alu instid0(VALU_DEP_4) | instskip(NEXT) | instid1(VALU_DEP_3)
	v_add_f16_e32 v14, v36, v14
	v_add_f16_e32 v26, v33, v26
	s_delay_alu instid0(VALU_DEP_3) | instskip(SKIP_2) | instid1(VALU_DEP_3)
	v_fma_f16 v31, 0xb5ac, v152, v34
	v_fma_f16 v33, v61, 0x388b, -v37
	v_fma_f16 v32, v152, 0xb5ac, -v34
	v_add_f16_e32 v26, v31, v26
	v_mul_f16_e64 v31, 0x2fb7, v189
	s_delay_alu instid0(VALU_DEP_4) | instskip(SKIP_1) | instid1(VALU_DEP_3)
	v_add_f16_e32 v14, v33, v14
	v_mul_f16_e64 v33, 0x3bf1, v157
	v_fma_f16 v34, 0xbbf1, v185, v31
	v_fmac_f16_e64 v31, 0x3bf1, v185
	s_delay_alu instid0(VALU_DEP_4) | instskip(NEXT) | instid1(VALU_DEP_4)
	v_add_f16_e32 v14, v32, v14
	v_fma_f16 v32, v156, 0x2fb7, -v33
	v_fma_f16 v33, 0x2fb7, v156, v33
	v_add_f16_e32 v29, v34, v30
	v_add_f16_e32 v25, v31, v25
	s_delay_alu instid0(VALU_DEP_4) | instskip(NEXT) | instid1(VALU_DEP_4)
	v_add_f16_e32 v14, v32, v14
	v_add_f16_e32 v26, v33, v26
	s_delay_alu instid0(VALU_DEP_2) | instskip(NEXT) | instid1(VALU_DEP_2)
	v_pack_b32_f16 v14, v14, v25
	v_pack_b32_f16 v16, v26, v29
	v_perm_b32 v25, v148, v24, 0x5040100
	v_perm_b32 v26, v151, v150, 0x5040100
	ds_store_2addr_b32 v15, v12, v13 offset0:16 offset1:20
	ds_store_2addr_b32 v15, v14, v16 offset0:24 offset1:28
	;; [unrolled: 1-line block ×4, first 2 shown]
	ds_store_b32 v15, v26 offset:192
.LBB0_15:
	s_wait_alu 0xfffe
	s_or_b32 exec_lo, exec_lo, s1
	v_mad_co_u64_u32 v[16:17], null, v99, 24, s[2:3]
	global_wb scope:SCOPE_SE
	s_wait_dscnt 0x0
	s_barrier_signal -1
	s_barrier_wait -1
	global_inv scope:SCOPE_SE
	v_add_nc_u32_e32 v58, 0xc00, v66
	v_add_nc_u32_e32 v47, 0x400, v66
	s_clause 0x1
	global_load_b128 v[12:15], v[16:17], off offset:200
	global_load_b64 v[25:26], v[16:17], off offset:216
	v_add_nc_u32_e32 v48, 0xa00, v66
	ds_load_2addr_b32 v[31:32], v66 offset0:104 offset1:156
	ds_load_2addr_b32 v[37:38], v58 offset0:168 offset1:220
	;; [unrolled: 1-line block ×3, first 2 shown]
	v_and_b32_e32 v16, 0xff, v42
	ds_load_2addr_b32 v[35:36], v47 offset0:160 offset1:212
	ds_load_b32 v172, v66 offset:4160
	ds_load_2addr_b32 v[33:34], v48 offset0:88 offset1:140
	v_lshlrev_b32_e32 v180, 2, v40
	v_mul_lo_u16 v16, 0x4f, v16
	s_delay_alu instid0(VALU_DEP_1) | instskip(NEXT) | instid1(VALU_DEP_1)
	v_lshrrev_b16 v16, 12, v16
	v_mul_lo_u16 v16, v16, 52
	s_wait_dscnt 0x5
	v_lshrrev_b32_e32 v17, 16, v32
	s_wait_dscnt 0x4
	v_lshrrev_b32_e32 v18, 16, v37
	s_wait_dscnt 0x3
	v_lshrrev_b32_e32 v19, 16, v44
	v_sub_nc_u16 v16, v42, v16
	s_wait_dscnt 0x0
	v_lshrrev_b32_e32 v29, 16, v34
	s_delay_alu instid0(VALU_DEP_2)
	v_and_b32_e32 v171, 0xff, v16
	s_wait_loadcnt 0x1
	v_lshrrev_b32_e32 v154, 16, v13
	s_wait_loadcnt 0x0
	v_lshrrev_b32_e32 v152, 16, v26
	v_lshrrev_b32_e32 v153, 16, v25
	;; [unrolled: 1-line block ×4, first 2 shown]
	v_mul_f16_e64 v50, v44, v154
	v_mul_f16_e64 v46, v37, v152
	;; [unrolled: 1-line block ×5, first 2 shown]
	v_fmac_f16_e32 v50, v19, v13
	v_fmac_f16_e32 v46, v18, v26
	v_mul_f16_e64 v18, v34, v153
	v_fma_f16 v37, v37, v26, -v49
	v_add_nc_u32_e32 v49, 0x800, v66
	v_fmac_f16_e32 v30, v17, v12
	v_mul_f16_e64 v17, v19, v154
	v_fmac_f16_e32 v18, v29, v25
	v_mul_f16_e64 v19, v29, v153
	v_lshrrev_b32_e32 v157, 16, v15
	v_fma_f16 v32, v32, v12, -v42
	v_fma_f16 v17, v44, v13, -v17
	v_add_f16_e32 v60, v50, v18
	v_sub_f16_e32 v61, v50, v18
	ds_load_2addr_b32 v[50:51], v49 offset0:112 offset1:164
	v_fma_f16 v19, v34, v25, -v19
	v_add_f16_e32 v42, v30, v46
	v_sub_f16_e32 v44, v30, v46
	v_mul_f16_e64 v18, v36, v156
	v_add_f16_e32 v34, v32, v37
	v_add_f16_e32 v46, v17, v19
	v_sub_f16_e32 v59, v17, v19
	v_lshrrev_b32_e32 v17, 16, v36
	v_sub_f16_e32 v32, v32, v37
	s_delay_alu instid0(VALU_DEP_2) | instskip(SKIP_1) | instid1(VALU_DEP_1)
	v_fmac_f16_e32 v18, v17, v14
	v_mul_f16_e64 v17, v17, v156
	v_fma_f16 v17, v36, v14, -v17
	s_wait_dscnt 0x0
	v_lshrrev_b32_e32 v19, 16, v50
	v_mul_f16_e64 v29, v50, v157
	v_add_f16_e32 v36, v60, v42
	s_delay_alu instid0(VALU_DEP_2) | instskip(SKIP_1) | instid1(VALU_DEP_1)
	v_fmac_f16_e32 v29, v19, v15
	v_mul_f16_e64 v19, v19, v157
	v_fma_f16 v19, v50, v15, -v19
	s_delay_alu instid0(VALU_DEP_1)
	v_add_f16_e32 v30, v17, v19
	v_sub_f16_e32 v17, v19, v17
	v_add_f16_e32 v19, v18, v29
	v_sub_f16_e32 v18, v29, v18
	;; [unrolled: 2-line block ×3, first 2 shown]
	v_sub_f16_e64 v158, v32, v17
	v_add_f16_e32 v50, v19, v36
	ds_load_2addr_b32 v[36:37], v66 offset1:52
	v_add_f16_e32 v29, v30, v29
	v_sub_f16_e32 v65, v19, v60
	v_sub_f16_e64 v159, v44, v18
	s_wait_dscnt 0x0
	v_lshrrev_b32_e32 v52, 16, v36
	v_add_f16_e32 v36, v36, v29
	s_delay_alu instid0(VALU_DEP_2) | instskip(NEXT) | instid1(VALU_DEP_2)
	v_add_f16_e32 v52, v52, v50
	v_fmamk_f16 v62, v29, 0xbcab, v36
	v_sub_f16_e32 v29, v34, v30
	v_sub_f16_e32 v30, v42, v19
	v_add_f16_e32 v19, v17, v59
	v_fmamk_f16 v63, v50, 0xbcab, v52
	v_pack_b32_f16 v36, v36, v52
	v_sub_f16_e32 v50, v17, v59
	v_add_f16_e32 v17, v18, v61
	v_sub_f16_e32 v52, v18, v61
	v_mul_f16_e64 v163, 0x3a52, v29
	v_mul_f16_e64 v164, 0x3a52, v30
	;; [unrolled: 1-line block ×3, first 2 shown]
	v_add_f16_e64 v162, v17, v44
	v_mul_f16_e64 v165, 0xb846, v52
	v_fma_f16 v17, 0x2b26, v64, v163
	v_add_f16_e64 v160, v19, v32
	v_fma_f16 v166, 0x3574, v158, v161
	v_add_nc_u32_e32 v50, 0x200, v66
	v_fma_f16 v167, 0x3574, v159, v165
	v_add_f16_e64 v168, v17, v62
	v_fma_f16 v17, 0x2b26, v65, v164
	v_fmac_f16_e64 v166, 0x370e, v160
	ds_load_2addr_b32 v[52:53], v50 offset0:80 offset1:132
	ds_load_2addr_b32 v[54:55], v49 offset0:8 offset1:60
	;; [unrolled: 1-line block ×3, first 2 shown]
	v_fmac_f16_e64 v167, 0x370e, v162
	v_sub_f16_e32 v32, v59, v32
	v_add_f16_e64 v169, v17, v63
	v_sub_f16_e32 v34, v46, v34
	s_delay_alu instid0(VALU_DEP_4) | instskip(NEXT) | instid1(VALU_DEP_4)
	v_add_f16_e64 v17, v167, v168
	v_fma_f16 v46, v32, 0x3b00, -v161
	s_delay_alu instid0(VALU_DEP_4) | instskip(SKIP_1) | instid1(VALU_DEP_3)
	v_sub_f16_e64 v18, v169, v166
	v_mul_f16_e32 v32, 0x3b00, v32
	v_fmac_f16_e64 v46, 0x370e, v160
	s_delay_alu instid0(VALU_DEP_3)
	v_pack_b32_f16 v170, v17, v18
	v_mad_co_u64_u32 v[16:17], null, v171, 24, s[2:3]
	s_clause 0x1
	global_load_b64 v[29:30], v[16:17], off offset:216
	global_load_b128 v[16:19], v[16:17], off offset:200
	global_wb scope:SCOPE_SE
	s_wait_loadcnt_dscnt 0x0
	s_barrier_signal -1
	s_barrier_wait -1
	global_inv scope:SCOPE_SE
	ds_store_2addr_b32 v66, v36, v170 offset1:52
	v_sub_f16_e32 v36, v60, v42
	v_sub_f16_e32 v42, v61, v44
	v_mul_f16_e32 v44, 0x2b26, v64
	v_mul_f16_e32 v60, 0x2b26, v65
	v_fma_f16 v32, v158, 0xb574, -v32
	v_lshrrev_b32_e32 v65, 16, v37
	v_fma_f16 v59, v42, 0x3b00, -v165
	v_mul_f16_e32 v42, 0x3b00, v42
	v_fma_f16 v44, v34, 0x39e0, -v44
	v_fma_f16 v34, v34, 0xb9e0, -v163
	;; [unrolled: 1-line block ×5, first 2 shown]
	v_fmac_f16_e64 v32, 0x370e, v160
	v_add_f16_e32 v34, v34, v62
	v_fmac_f16_e64 v59, 0x370e, v162
	v_add_f16_e32 v36, v36, v63
	;; [unrolled: 2-line block ×3, first 2 shown]
	v_add_f16_e32 v60, v60, v63
	s_delay_alu instid0(VALU_DEP_4) | instskip(NEXT) | instid1(VALU_DEP_4)
	v_sub_f16_e32 v62, v36, v32
	v_add_f16_e32 v61, v42, v34
	v_sub_f16_e32 v34, v34, v42
	s_delay_alu instid0(VALU_DEP_4)
	v_add_f16_e32 v63, v46, v60
	v_sub_f16_e32 v46, v60, v46
	v_add_f16_e32 v32, v32, v36
	v_pack_b32_f16 v61, v61, v62
	v_sub_f16_e32 v62, v44, v59
	v_add_f16_e32 v44, v59, v44
	v_lshrrev_b32_e32 v42, 16, v51
	v_pack_b32_f16 v32, v34, v32
	v_mul_f16_e64 v59, v52, v155
	v_pack_b32_f16 v62, v62, v63
	v_pack_b32_f16 v36, v44, v46
	v_mul_f16_e64 v44, v42, v157
	v_lshrrev_b32_e32 v46, 16, v38
	v_lshrrev_b32_e32 v60, 16, v56
	ds_store_2addr_b32 v66, v61, v62 offset0:104 offset1:156
	ds_store_2addr_b32 v50, v36, v32 offset0:80 offset1:132
	v_lshrrev_b32_e32 v32, 16, v45
	v_mul_f16_e64 v36, v45, v154
	v_fma_f16 v44, v51, v15, -v44
	v_mul_f16_e64 v61, v56, v153
	v_lshrrev_b32_e32 v62, 16, v54
	v_mul_f16_e64 v34, v32, v154
	v_mul_f16_e64 v63, v54, v156
	v_fmac_f16_e32 v36, v32, v13
	v_fmac_f16_e32 v61, v60, v25
	v_mul_f16_e64 v60, v60, v153
	v_fma_f16 v34, v45, v13, -v34
	v_mul_f16_e64 v45, v51, v157
	v_mul_f16_e64 v51, v46, v152
	v_sub_f16_e64 v32, v168, v167
	v_fmac_f16_e32 v63, v62, v14
	v_mul_f16_e64 v62, v62, v156
	v_fmac_f16_e32 v45, v42, v15
	v_fma_f16 v51, v38, v26, -v51
	v_mul_f16_e64 v38, v38, v152
	v_add_f16_e64 v42, v166, v169
	v_fma_f16 v54, v54, v14, -v62
	v_add_f16_e64 v158, v36, v61
	v_add_f16_e64 v159, v63, v45
	v_fmac_f16_e32 v38, v46, v26
	v_lshrrev_b32_e32 v46, 16, v52
	v_pack_b32_f16 v32, v32, v42
	v_add_f16_e32 v62, v54, v44
	v_sub_f16_e32 v36, v36, v61
	v_sub_f16_e32 v44, v44, v54
	v_fmac_f16_e32 v59, v46, v12
	v_mul_f16_e64 v46, v46, v155
	v_sub_f16_e32 v45, v45, v63
	s_delay_alu instid0(VALU_DEP_3) | instskip(NEXT) | instid1(VALU_DEP_3)
	v_add_f16_e32 v42, v59, v38
	v_fma_f16 v46, v52, v12, -v46
	v_fma_f16 v52, v56, v25, -v60
	v_sub_f16_e32 v38, v59, v38
	v_sub_f16_e32 v61, v45, v36
	v_add_f16_e64 v160, v158, v42
	v_add_f16_e32 v56, v46, v51
	v_add_f16_e32 v60, v34, v52
	v_sub_f16_e32 v34, v34, v52
	v_sub_f16_e64 v54, v158, v42
	v_add_f16_e64 v160, v159, v160
	v_mul_f16_e32 v61, 0xb846, v61
	v_add_f16_e32 v64, v60, v56
	v_sub_f16_e32 v52, v62, v60
	v_add_f16_e32 v59, v44, v34
	v_add_f16_e64 v65, v65, v160
	v_sub_f16_e64 v42, v42, v159
	v_add_f16_e32 v64, v62, v64
	s_delay_alu instid0(VALU_DEP_2) | instskip(NEXT) | instid1(VALU_DEP_2)
	v_mul_f16_e32 v42, 0x3a52, v42
	v_add_f16_e32 v37, v37, v64
	s_delay_alu instid0(VALU_DEP_1)
	v_pack_b32_f16 v161, v37, v65
	v_fmamk_f16 v37, v64, 0xbcab, v37
	ds_store_2addr_b32 v47, v32, v161 offset0:56 offset1:108
	v_sub_f16_e32 v32, v46, v51
	v_sub_f16_e32 v51, v56, v62
	;; [unrolled: 1-line block ×3, first 2 shown]
	v_sub_f16_e64 v56, v159, v158
	v_sub_f16_e32 v60, v44, v34
	v_sub_f16_e32 v34, v34, v32
	v_mul_f16_e32 v51, 0x3a52, v51
	v_sub_f16_e32 v44, v32, v44
	v_add_f16_e32 v32, v59, v32
	v_add_f16_e32 v59, v45, v36
	v_sub_f16_e32 v36, v36, v38
	v_fmamk_f16 v64, v52, 0x2b26, v51
	v_mul_f16_e32 v52, 0x2b26, v52
	v_mul_f16_e32 v60, 0xb846, v60
	;; [unrolled: 1-line block ×3, first 2 shown]
	v_fma_f16 v51, v46, 0xb9e0, -v51
	v_sub_f16_e32 v45, v38, v45
	v_fma_f16 v46, v46, 0x39e0, -v52
	v_mul_f16_e32 v52, 0x2b26, v56
	v_add_f16_e32 v38, v59, v38
	v_fma_f16 v59, 0xbcab, v160, v65
	v_fma_f16 v62, v44, 0xb574, -v62
	v_fmamk_f16 v44, v44, 0x3574, v60
	v_mul_f16_e32 v63, 0x3b00, v36
	v_fma_f16 v34, v34, 0x3b00, -v60
	v_fma_f16 v36, v36, 0x3b00, -v61
	;; [unrolled: 1-line block ×3, first 2 shown]
	v_fmac_f16_e32 v44, 0x370e, v32
	v_fma_f16 v63, v45, 0xb574, -v63
	v_fmamk_f16 v45, v45, 0x3574, v61
	v_add_f16_e32 v64, v64, v37
	v_fmac_f16_e32 v62, 0x370e, v32
	v_add_f16_e32 v51, v51, v37
	v_fmac_f16_e32 v36, 0x370e, v38
	;; [unrolled: 2-line block ×4, first 2 shown]
	v_fmamk_f16 v65, v56, 0x2b26, v42
	v_fma_f16 v42, v54, 0xb9e0, -v42
	v_fmac_f16_e32 v63, 0x370e, v38
	v_sub_f16_e32 v38, v37, v36
	v_add_f16_e32 v36, v36, v37
	v_add_f16_e32 v37, v34, v32
	v_sub_f16_e32 v32, v32, v34
	v_add_f16_e32 v65, v65, v59
	v_add_f16_e32 v42, v42, v59
	v_add_f16_e64 v158, v45, v64
	v_pack_b32_f16 v34, v38, v37
	v_pack_b32_f16 v32, v36, v32
	v_sub_f16_e64 v159, v65, v44
	v_sub_f16_e32 v36, v64, v45
	v_add_f16_e32 v37, v44, v65
	v_sub_f16_e64 v160, v42, v62
	ds_store_2addr_b32 v49, v34, v32 offset0:8 offset1:60
	v_sub_f16_e32 v32, v51, v63
	v_add_f16_e32 v34, v62, v42
	v_pack_b32_f16 v158, v158, v159
	v_add_f16_e64 v159, v63, v51
	v_lshrrev_b32_e32 v42, 16, v55
	v_lshrrev_b32_e32 v46, 16, v33
	v_pack_b32_f16 v32, v32, v34
	v_pack_b32_f16 v34, v36, v37
	v_lshrrev_b32_e32 v37, 16, v35
	v_pack_b32_f16 v159, v159, v160
	v_lshrrev_b32_e32 v52, 16, v57
	ds_store_2addr_b32 v49, v32, v34 offset0:112 offset1:164
	v_lshrrev_b32_e32 v32, 16, v53
	ds_store_2addr_b32 v47, v158, v159 offset0:160 offset1:212
	v_lshrrev_b32_e32 v160, 16, v29
	v_lshrrev_b32_e32 v164, 16, v16
	;; [unrolled: 1-line block ×6, first 2 shown]
	v_mul_f16_e64 v36, v53, v164
	v_mul_f16_e64 v38, v37, v162
	;; [unrolled: 1-line block ×5, first 2 shown]
	v_fmac_f16_e32 v36, v32, v16
	v_fma_f16 v38, v35, v17, -v38
	v_mul_f16_e64 v35, v35, v162
	v_lshrrev_b32_e32 v32, 16, v172
	v_fma_f16 v34, v53, v16, -v34
	v_mul_f16_e64 v51, v46, v159
	v_mul_f16_e64 v53, v52, v160
	;; [unrolled: 1-line block ×3, first 2 shown]
	v_fmac_f16_e32 v35, v37, v17
	v_fmac_f16_e32 v45, v42, v18
	v_mul_f16_e64 v37, v32, v161
	v_mul_f16_e64 v42, v172, v161
	v_fma_f16 v51, v33, v19, -v51
	v_mul_f16_e64 v33, v33, v159
	v_fma_f16 v53, v57, v29, -v53
	v_fma_f16 v37, v172, v30, -v37
	v_fmac_f16_e32 v42, v32, v30
	v_fmac_f16_e32 v54, v52, v29
	v_fma_f16 v44, v55, v18, -v44
	v_fmac_f16_e32 v33, v46, v19
	v_add_f16_e32 v32, v34, v37
	v_sub_f16_e32 v34, v34, v37
	v_add_f16_e32 v37, v36, v42
	v_sub_f16_e32 v36, v36, v42
	v_add_f16_e32 v42, v38, v53
	v_add_f16_e32 v46, v35, v54
	v_sub_f16_e32 v35, v35, v54
	v_add_f16_e32 v52, v44, v51
	v_sub_f16_e32 v44, v51, v44
	;; [unrolled: 2-line block ×3, first 2 shown]
	v_add_f16_e32 v45, v42, v32
	v_add_f16_e32 v54, v46, v37
	v_sub_f16_e32 v38, v38, v53
	v_lshrrev_b32_e32 v53, 16, v31
	v_sub_f16_e32 v55, v37, v51
	v_add_f16_e32 v45, v52, v45
	v_add_f16_e32 v54, v51, v54
	v_sub_f16_e32 v57, v44, v38
	v_sub_f16_e32 v60, v33, v35
	;; [unrolled: 1-line block ×3, first 2 shown]
	v_add_f16_e32 v31, v31, v45
	v_add_f16_e32 v53, v53, v54
	;; [unrolled: 1-line block ×3, first 2 shown]
	v_sub_f16_e32 v44, v34, v44
	v_add_f16_e32 v59, v33, v35
	v_fmamk_f16 v45, v45, 0xbcab, v31
	v_fmamk_f16 v54, v54, 0xbcab, v53
	v_pack_b32_f16 v31, v31, v53
	v_sub_f16_e32 v53, v32, v52
	v_sub_f16_e32 v52, v52, v42
	;; [unrolled: 1-line block ×3, first 2 shown]
	v_mul_f16_e32 v57, 0xb846, v57
	v_mul_f16_e32 v55, 0x3a52, v55
	;; [unrolled: 1-line block ×4, first 2 shown]
	v_add_f16_e32 v56, v56, v34
	v_add_f16_e32 v59, v59, v36
	v_fmamk_f16 v61, v44, 0x3574, v57
	v_fmamk_f16 v63, v52, 0x2b26, v53
	;; [unrolled: 1-line block ×4, first 2 shown]
	v_sub_f16_e32 v35, v35, v36
	v_fmac_f16_e32 v61, 0x370e, v56
	v_add_f16_e32 v63, v63, v45
	v_fmac_f16_e32 v62, 0x370e, v59
	v_add_f16_e32 v64, v64, v54
	v_sub_f16_e32 v34, v38, v34
	v_fma_f16 v38, v35, 0x3b00, -v60
	v_mul_f16_e32 v35, 0x3b00, v35
	v_add_f16_e32 v65, v62, v63
	v_sub_f16_e64 v158, v64, v61
	v_mul_f16_e32 v36, 0x2b26, v52
	v_fmac_f16_e32 v38, 0x370e, v59
	v_fma_f16 v33, v33, 0xb574, -v35
	v_mul_f16_e32 v35, 0x2b26, v51
	v_pack_b32_f16 v65, v65, v158
	v_lshlrev_b32_e32 v158, 2, v171
	s_delay_alu instid0(VALU_DEP_4) | instskip(NEXT) | instid1(VALU_DEP_2)
	v_fmac_f16_e32 v33, 0x370e, v59
	v_add_nc_u32_e32 v165, 0xa00, v158
	ds_store_2addr_b32 v165, v31, v65 offset0:88 offset1:140
	v_sub_f16_e32 v31, v42, v32
	v_sub_f16_e32 v32, v46, v37
	v_fma_f16 v37, v34, 0x3b00, -v57
	v_mul_f16_e32 v34, 0x3b00, v34
	s_delay_alu instid0(VALU_DEP_4) | instskip(SKIP_2) | instid1(VALU_DEP_4)
	v_fma_f16 v36, v31, 0x39e0, -v36
	v_fma_f16 v31, v31, 0xb9e0, -v53
	;; [unrolled: 1-line block ×5, first 2 shown]
	v_fmac_f16_e32 v37, 0x370e, v56
	v_add_f16_e32 v31, v31, v45
	v_add_f16_e32 v36, v36, v45
	v_fmac_f16_e32 v34, 0x370e, v56
	v_add_f16_e32 v32, v32, v54
	v_add_f16_e32 v35, v35, v54
	;; [unrolled: 1-line block ×3, first 2 shown]
	v_sub_f16_e32 v31, v31, v33
	s_delay_alu instid0(VALU_DEP_4) | instskip(NEXT) | instid1(VALU_DEP_4)
	v_sub_f16_e32 v44, v32, v34
	v_add_f16_e32 v45, v37, v35
	v_sub_f16_e32 v35, v35, v37
	v_add_f16_e32 v32, v34, v32
	s_delay_alu instid0(VALU_DEP_4) | instskip(SKIP_2) | instid1(VALU_DEP_4)
	v_pack_b32_f16 v42, v42, v44
	v_sub_f16_e32 v44, v36, v38
	v_add_f16_e32 v36, v38, v36
	v_pack_b32_f16 v31, v31, v32
	v_add_f16_e32 v32, v61, v64
	s_delay_alu instid0(VALU_DEP_4)
	v_pack_b32_f16 v44, v44, v45
	v_add_nc_u32_e32 v45, 0xc00, v158
	v_pack_b32_f16 v33, v36, v35
	v_lshlrev_b32_e32 v35, 2, v43
	v_lshlrev_b32_e32 v36, 2, v39
	ds_store_2addr_b32 v45, v42, v44 offset0:64 offset1:116
	ds_store_2addr_b32 v45, v33, v31 offset0:168 offset1:220
	v_sub_f16_e32 v31, v63, v62
	s_delay_alu instid0(VALU_DEP_1)
	v_pack_b32_f16 v31, v31, v32
	ds_store_b32 v158, v31 offset:4160
	global_wb scope:SCOPE_SE
	s_wait_dscnt 0x0
	s_barrier_signal -1
	s_barrier_wait -1
	global_inv scope:SCOPE_SE
	s_clause 0x1
	global_load_b64 v[31:32], v41, s[2:3] offset:1448
	global_load_b64 v[33:34], v128, s[2:3] offset:1448
	ds_load_2addr_b32 v[41:42], v48 offset0:88 offset1:140
	s_wait_dscnt 0x0
	v_lshrrev_b32_e32 v51, 16, v41
	v_lshrrev_b32_e32 v43, 16, v42
	s_wait_loadcnt 0x1
	v_lshrrev_b32_e32 v166, 16, v32
	v_lshrrev_b32_e32 v169, 16, v31
	s_delay_alu instid0(VALU_DEP_2) | instskip(SKIP_1) | instid1(VALU_DEP_2)
	v_mul_f16_e64 v37, v51, v166
	v_mul_f16_e64 v55, v41, v166
	v_fma_f16 v52, v41, v32, -v37
	s_clause 0x2
	global_load_b64 v[39:40], v35, s[2:3] offset:1448
	global_load_b64 v[37:38], v36, s[2:3] offset:1448
	;; [unrolled: 1-line block ×3, first 2 shown]
	v_fmac_f16_e32 v55, v51, v32
	s_wait_loadcnt 0x2
	v_lshrrev_b32_e32 v165, 16, v40
	v_lshrrev_b32_e32 v167, 16, v39
	s_wait_loadcnt 0x1
	v_lshrrev_b32_e32 v170, 16, v38
	v_lshrrev_b32_e32 v171, 16, v37
	v_mul_f16_e64 v44, v43, v165
	v_mul_f16_e64 v54, v42, v165
	s_delay_alu instid0(VALU_DEP_2)
	v_fma_f16 v53, v42, v40, -v44
	ds_load_2addr_b32 v[41:42], v47 offset0:160 offset1:212
	v_fmac_f16_e32 v54, v43, v40
	s_wait_dscnt 0x0
	v_lshrrev_b32_e32 v43, 16, v41
	v_mul_f16_e64 v45, v41, v167
	s_delay_alu instid0(VALU_DEP_1) | instskip(SKIP_1) | instid1(VALU_DEP_1)
	v_fmac_f16_e32 v45, v43, v39
	v_mul_f16_e64 v43, v43, v167
	v_fma_f16 v41, v41, v39, -v43
	ds_load_2addr_b32 v[43:44], v66 offset1:52
	v_add_f16_e32 v46, v41, v53
	s_wait_dscnt 0x0
	v_lshrrev_b32_e32 v56, 16, v44
	v_add_f16_e32 v57, v44, v41
	s_delay_alu instid0(VALU_DEP_3) | instskip(SKIP_4) | instid1(VALU_DEP_4)
	v_fmac_f16_e32 v44, -0.5, v46
	v_add_f16_e32 v46, v45, v54
	v_sub_f16_e32 v41, v41, v53
	v_add_f16_e32 v59, v56, v45
	v_sub_f16_e32 v45, v45, v54
	v_fmac_f16_e32 v56, -0.5, v46
	s_delay_alu instid0(VALU_DEP_2) | instskip(SKIP_4) | instid1(VALU_DEP_2)
	v_fmamk_f16 v63, v45, 0x3aee, v44
	v_fmac_f16_e32 v44, 0xbaee, v45
	ds_load_2addr_b32 v[45:46], v47 offset0:56 offset1:108
	v_fmamk_f16 v64, v41, 0xbaee, v56
	v_fmac_f16_e32 v56, 0x3aee, v41
	v_pack_b32_f16 v63, v63, v64
	s_delay_alu instid0(VALU_DEP_2) | instskip(SKIP_3) | instid1(VALU_DEP_1)
	v_pack_b32_f16 v65, v44, v56
	v_lshrrev_b32_e32 v44, 16, v43
	s_wait_dscnt 0x0
	v_lshrrev_b32_e32 v41, 16, v46
	v_mul_f16_e64 v60, v41, v169
	s_delay_alu instid0(VALU_DEP_1) | instskip(SKIP_1) | instid1(VALU_DEP_2)
	v_fma_f16 v60, v46, v31, -v60
	v_mul_f16_e64 v46, v46, v169
	v_add_f16_e32 v61, v60, v52
	s_delay_alu instid0(VALU_DEP_2) | instskip(SKIP_1) | instid1(VALU_DEP_3)
	v_fmac_f16_e32 v46, v41, v31
	v_sub_f16_e32 v41, v60, v52
	v_fma_f16 v61, -0.5, v61, v43
	v_add_f16_e32 v43, v43, v60
	s_delay_alu instid0(VALU_DEP_4) | instskip(NEXT) | instid1(VALU_DEP_2)
	v_add_f16_e32 v51, v44, v46
	v_add_f16_e32 v43, v43, v52
	;; [unrolled: 1-line block ×3, first 2 shown]
	v_sub_f16_e32 v46, v46, v55
	s_delay_alu instid0(VALU_DEP_4) | instskip(NEXT) | instid1(VALU_DEP_3)
	v_add_f16_e32 v51, v51, v55
	v_fmac_f16_e32 v44, -0.5, v52
	v_add_f16_e32 v52, v57, v53
	v_add_f16_e32 v53, v59, v54
	v_fmamk_f16 v54, v46, 0x3aee, v61
	v_fmac_f16_e32 v61, 0xbaee, v46
	v_fmamk_f16 v46, v41, 0xbaee, v44
	v_fmac_f16_e32 v44, 0x3aee, v41
	v_pack_b32_f16 v41, v43, v51
	v_pack_b32_f16 v57, v52, v53
	s_delay_alu instid0(VALU_DEP_4) | instskip(NEXT) | instid1(VALU_DEP_4)
	v_pack_b32_f16 v46, v54, v46
	v_pack_b32_f16 v168, v61, v44
	ds_load_2addr_b32 v[43:44], v58 offset0:64 offset1:116
	ds_load_2addr_b32 v[51:52], v49 offset0:8 offset1:60
	;; [unrolled: 1-line block ×6, first 2 shown]
	ds_store_b32 v66, v46 offset:1456
	ds_store_b32 v66, v168 offset:2912
	ds_load_b32 v46, v66 offset:4160
	ds_store_2addr_b32 v66, v41, v57 offset1:52
	v_lshrrev_b32_e32 v41, 16, v42
	s_delay_alu instid0(VALU_DEP_1) | instskip(SKIP_3) | instid1(VALU_DEP_3)
	v_mul_f16_e64 v57, v41, v171
	s_wait_dscnt 0x9
	v_lshrrev_b32_e32 v172, 16, v43
	v_lshrrev_b32_e32 v174, 16, v44
	v_fma_f16 v57, v42, v37, -v57
	v_mul_f16_e64 v42, v42, v171
	s_wait_dscnt 0x5
	v_lshrrev_b32_e32 v176, 16, v60
	v_mul_f16_e64 v168, v172, v170
	s_delay_alu instid0(VALU_DEP_3) | instskip(SKIP_1) | instid1(VALU_DEP_3)
	v_fmac_f16_e32 v42, v41, v37
	v_lshrrev_b32_e32 v41, 16, v51
	v_fma_f16 v173, v43, v38, -v168
	s_wait_loadcnt 0x0
	v_lshrrev_b32_e32 v168, 16, v36
	v_mul_f16_e64 v43, v43, v170
	s_delay_alu instid0(VALU_DEP_2) | instskip(NEXT) | instid1(VALU_DEP_2)
	v_mul_f16_e64 v175, v174, v168
	v_fmac_f16_e64 v43, v172, v38
	v_lshrrev_b32_e32 v172, 16, v35
	s_delay_alu instid0(VALU_DEP_3) | instskip(SKIP_1) | instid1(VALU_DEP_1)
	v_fma_f16 v175, v44, v36, -v175
	v_mul_f16_e64 v44, v44, v168
	v_fmac_f16_e64 v44, v174, v36
	s_delay_alu instid0(VALU_DEP_4) | instskip(NEXT) | instid1(VALU_DEP_1)
	v_mul_f16_e64 v174, v51, v172
	v_fmac_f16_e64 v174, v41, v35
	v_mul_f16_e64 v41, v41, v172
	s_delay_alu instid0(VALU_DEP_2) | instskip(NEXT) | instid1(VALU_DEP_2)
	v_add_f16_e64 v178, v176, v174
	v_fma_f16 v41, v51, v35, -v41
	s_delay_alu instid0(VALU_DEP_1) | instskip(SKIP_2) | instid1(VALU_DEP_3)
	v_add_f16_e64 v51, v41, v175
	v_add_f16_e64 v177, v60, v41
	v_sub_f16_e64 v41, v41, v175
	v_fmac_f16_e32 v60, -0.5, v51
	v_add_f16_e64 v51, v174, v44
	s_delay_alu instid0(VALU_DEP_1) | instskip(SKIP_3) | instid1(VALU_DEP_3)
	v_fmac_f16_e64 v176, -0.5, v51
	v_sub_f16_e64 v51, v174, v44
	v_lshrrev_b32_e32 v174, 16, v59
	v_add_f16_e64 v44, v178, v44
	v_fma_f16 v181, 0x3aee, v51, v60
	v_fmac_f16_e32 v60, 0xbaee, v51
	v_fma_f16 v51, 0xbaee, v41, v176
	v_fmac_f16_e64 v176, 0x3aee, v41
	v_add_f16_e64 v41, v57, v173
	v_add_f16_e64 v182, v174, v42
	s_delay_alu instid0(VALU_DEP_4) | instskip(NEXT) | instid1(VALU_DEP_4)
	v_pack_b32_f16 v51, v181, v51
	v_pack_b32_f16 v60, v60, v176
	v_add_f16_e64 v176, v42, v43
	v_fma_f16 v41, -0.5, v41, v59
	v_add_f16_e32 v59, v59, v57
	v_sub_f16_e32 v42, v42, v43
	v_sub_f16_e64 v57, v57, v173
	v_fmac_f16_e64 v174, -0.5, v176
	s_delay_alu instid0(VALU_DEP_3) | instskip(SKIP_1) | instid1(VALU_DEP_3)
	v_fmamk_f16 v64, v42, 0x3aee, v41
	v_fmac_f16_e32 v41, 0xbaee, v42
	v_fma_f16 v176, 0xbaee, v57, v174
	v_fmac_f16_e64 v174, 0x3aee, v57
	v_add_f16_e64 v42, v182, v43
	v_add_f16_e64 v43, v177, v175
	v_lshrrev_b32_e32 v57, 16, v52
	v_pack_b32_f16 v64, v64, v176
	v_pack_b32_f16 v41, v41, v174
	ds_store_2addr_b32 v47, v63, v64 offset0:160 offset1:212
	ds_store_2addr_b32 v58, v65, v41 offset0:12 offset1:64
	v_add_f16_e64 v41, v59, v173
	v_lshrrev_b32_e32 v63, 16, v53
	v_lshrrev_b32_e32 v65, 16, v54
	s_delay_alu instid0(VALU_DEP_3)
	v_pack_b32_f16 v41, v41, v42
	v_pack_b32_f16 v42, v43, v44
	ds_store_2addr_b32 v66, v41, v42 offset0:104 offset1:156
	s_clause 0x1
	global_load_b64 v[43:44], v129, s[2:3] offset:1448
	global_load_b64 v[41:42], v126, s[2:3] offset:1448
	s_add_nc_u64 s[2:3], s[16:17], 0x1110
	s_wait_loadcnt 0x1
	v_lshrrev_b32_e32 v175, 16, v43
	v_lshrrev_b32_e32 v174, 16, v44
	s_wait_loadcnt 0x0
	v_lshrrev_b32_e32 v173, 16, v42
	s_delay_alu instid0(VALU_DEP_3) | instskip(NEXT) | instid1(VALU_DEP_3)
	v_mul_f16_e64 v59, v57, v175
	v_mul_f16_e64 v64, v63, v174
	s_delay_alu instid0(VALU_DEP_3) | instskip(NEXT) | instid1(VALU_DEP_3)
	v_mul_f16_e64 v176, v65, v173
	v_fma_f16 v59, v52, v43, -v59
	v_mul_f16_e64 v52, v52, v175
	s_delay_alu instid0(VALU_DEP_4) | instskip(NEXT) | instid1(VALU_DEP_4)
	v_fma_f16 v64, v53, v44, -v64
	v_fma_f16 v177, v54, v42, -v176
	v_mul_f16_e64 v53, v53, v174
	v_lshrrev_b32_e32 v176, 16, v41
	v_fmac_f16_e32 v52, v57, v43
	v_lshrrev_b32_e32 v57, 16, v55
	v_mul_f16_e64 v54, v54, v173
	v_fmac_f16_e32 v53, v63, v44
	v_mul_f16_e64 v63, v55, v176
	s_delay_alu instid0(VALU_DEP_3) | instskip(SKIP_2) | instid1(VALU_DEP_3)
	v_fmac_f16_e32 v54, v65, v42
	s_wait_dscnt 0x7
	v_lshrrev_b32_e32 v65, 16, v62
	v_fmac_f16_e32 v63, v57, v41
	v_mul_f16_e64 v57, v57, v176
	v_add_f16_e64 v183, v52, v53
	s_delay_alu instid0(VALU_DEP_3) | instskip(NEXT) | instid1(VALU_DEP_3)
	v_add_f16_e64 v182, v65, v63
	v_fma_f16 v55, v55, v41, -v57
	s_delay_alu instid0(VALU_DEP_1) | instskip(SKIP_2) | instid1(VALU_DEP_3)
	v_add_f16_e64 v57, v55, v177
	v_add_f16_e64 v178, v62, v55
	v_sub_f16_e64 v55, v55, v177
	v_fmac_f16_e32 v62, -0.5, v57
	v_add_f16_e32 v57, v63, v54
	s_delay_alu instid0(VALU_DEP_1) | instskip(SKIP_2) | instid1(VALU_DEP_2)
	v_fmac_f16_e32 v65, -0.5, v57
	v_sub_f16_e32 v57, v63, v54
	v_add_f16_e64 v54, v182, v54
	v_fmamk_f16 v63, v57, 0x3aee, v62
	v_fmac_f16_e32 v62, 0xbaee, v57
	v_fmamk_f16 v57, v55, 0xbaee, v65
	v_fmac_f16_e32 v65, 0x3aee, v55
	v_add_f16_e32 v55, v59, v64
	s_delay_alu instid0(VALU_DEP_2) | instskip(SKIP_1) | instid1(VALU_DEP_3)
	v_pack_b32_f16 v62, v62, v65
	v_lshrrev_b32_e32 v65, 16, v61
	v_fma_f16 v55, -0.5, v55, v61
	v_add_f16_e32 v61, v61, v59
	v_sub_f16_e32 v59, v59, v64
	s_delay_alu instid0(VALU_DEP_4) | instskip(SKIP_2) | instid1(VALU_DEP_3)
	v_add_f16_e64 v184, v65, v52
	v_fmac_f16_e64 v65, -0.5, v183
	v_sub_f16_e32 v52, v52, v53
	v_add_f16_e64 v53, v184, v53
	s_delay_alu instid0(VALU_DEP_3) | instskip(NEXT) | instid1(VALU_DEP_3)
	v_fma_f16 v183, 0xbaee, v59, v65
	v_fma_f16 v181, 0x3aee, v52, v55
	v_fmac_f16_e32 v55, 0xbaee, v52
	v_fmac_f16_e32 v65, 0x3aee, v59
	s_delay_alu instid0(VALU_DEP_3)
	v_pack_b32_f16 v181, v181, v183
	ds_store_b32 v66, v60 offset:3536
	ds_store_2addr_b32 v49, v51, v181 offset0:8 offset1:60
	v_add_f16_e32 v51, v61, v64
	v_add_f16_e64 v60, v178, v177
	v_lshrrev_b32_e32 v178, 16, v33
	v_lshrrev_b32_e32 v177, 16, v34
	;; [unrolled: 1-line block ×3, first 2 shown]
	v_pack_b32_f16 v51, v51, v53
	v_pack_b32_f16 v53, v60, v54
	ds_store_2addr_b32 v50, v51, v53 offset0:80 offset1:132
	v_pack_b32_f16 v51, v55, v65
	v_mul_f16_e64 v53, v56, v178
	ds_store_2addr_b32 v58, v51, v62 offset0:168 offset1:220
	v_lshrrev_b32_e32 v51, 16, v56
	s_delay_alu instid0(VALU_DEP_1) | instskip(SKIP_3) | instid1(VALU_DEP_3)
	v_mul_f16_e64 v52, v51, v178
	v_fmac_f16_e32 v53, v51, v33
	s_wait_dscnt 0x8
	v_lshrrev_b32_e32 v51, 16, v46
	v_fma_f16 v52, v56, v33, -v52
	s_delay_alu instid0(VALU_DEP_3) | instskip(NEXT) | instid1(VALU_DEP_3)
	v_add_f16_e64 v56, v181, v53
	v_mul_f16_e64 v54, v51, v177
	s_delay_alu instid0(VALU_DEP_3) | instskip(NEXT) | instid1(VALU_DEP_2)
	v_add_f16_e32 v55, v45, v52
	v_fma_f16 v54, v46, v34, -v54
	v_mul_f16_e64 v46, v46, v177
	s_delay_alu instid0(VALU_DEP_1) | instskip(NEXT) | instid1(VALU_DEP_3)
	v_fmac_f16_e32 v46, v51, v34
	v_add_f16_e32 v51, v52, v54
	v_sub_f16_e32 v52, v52, v54
	s_delay_alu instid0(VALU_DEP_2) | instskip(NEXT) | instid1(VALU_DEP_4)
	v_fmac_f16_e32 v45, -0.5, v51
	v_add_f16_e32 v51, v53, v46
	v_sub_f16_e32 v53, v53, v46
	v_add_f16_e32 v46, v56, v46
	s_delay_alu instid0(VALU_DEP_3) | instskip(SKIP_1) | instid1(VALU_DEP_4)
	v_fmac_f16_e64 v181, -0.5, v51
	v_pack_b32_f16 v51, v63, v57
	v_fmamk_f16 v57, v53, 0x3aee, v45
	v_fmac_f16_e32 v45, 0xbaee, v53
	s_delay_alu instid0(VALU_DEP_4) | instskip(SKIP_1) | instid1(VALU_DEP_2)
	v_fma_f16 v59, 0xbaee, v52, v181
	v_fmac_f16_e64 v181, 0x3aee, v52
	v_pack_b32_f16 v57, v57, v59
	ds_store_2addr_b32 v49, v51, v57 offset0:112 offset1:164
	v_add_f16_e32 v51, v55, v54
	s_delay_alu instid0(VALU_DEP_1)
	v_pack_b32_f16 v46, v51, v46
	v_pack_b32_f16 v51, v45, v181
	ds_store_b32 v66, v46 offset:1248
	ds_store_b32 v66, v51 offset:4160
	global_wb scope:SCOPE_SE
	s_wait_dscnt 0x0
	s_barrier_signal -1
	s_barrier_wait -1
	global_inv scope:SCOPE_SE
	s_clause 0x7
	global_load_b32 v46, v[20:21], off offset:4368
	global_load_b32 v57, v66, s[2:3] offset:208
	global_load_b32 v59, v66, s[2:3] offset:416
	;; [unrolled: 1-line block ×7, first 2 shown]
	ds_load_2addr_b32 v[51:52], v66 offset1:52
	s_wait_dscnt 0x0
	v_lshrrev_b32_e32 v54, 16, v51
	s_wait_loadcnt 0x7
	v_lshrrev_b32_e32 v53, 16, v46
	s_delay_alu instid0(VALU_DEP_1) | instskip(NEXT) | instid1(VALU_DEP_3)
	v_mul_f16_e32 v55, v51, v53
	v_mul_f16_e32 v53, v54, v53
	s_delay_alu instid0(VALU_DEP_2) | instskip(NEXT) | instid1(VALU_DEP_2)
	v_fmac_f16_e32 v55, v54, v46
	v_fma_f16 v46, v51, v46, -v53
	s_delay_alu instid0(VALU_DEP_1)
	v_pack_b32_f16 v46, v46, v55
	ds_store_b32 v66, v46
	s_clause 0x6
	global_load_b32 v46, v66, s[2:3] offset:2184
	global_load_b32 v51, v66, s[2:3] offset:2392
	;; [unrolled: 1-line block ×7, first 2 shown]
	ds_load_2addr_b32 v[53:54], v49 offset0:34 offset1:86
	global_load_b32 v188, v66, s[2:3] offset:1664
	s_wait_dscnt 0x0
	v_lshrrev_b32_e32 v56, 16, v53
	s_wait_loadcnt 0x7
	v_lshrrev_b32_e32 v55, 16, v46
	s_delay_alu instid0(VALU_DEP_1) | instskip(NEXT) | instid1(VALU_DEP_3)
	v_mul_f16_e64 v186, v53, v55
	v_mul_f16_e64 v187, v56, v55
	s_wait_loadcnt 0x1
	v_lshrrev_b32_e32 v189, 16, v185
	s_delay_alu instid0(VALU_DEP_3) | instskip(SKIP_2) | instid1(VALU_DEP_1)
	v_fmac_f16_e64 v186, v56, v46
	ds_load_2addr_b32 v[55:56], v47 offset0:160 offset1:212
	v_fma_f16 v46, v53, v46, -v187
	v_pack_b32_f16 v46, v46, v186
	s_wait_dscnt 0x0
	v_lshrrev_b32_e32 v190, 16, v56
	v_mul_f16_e64 v191, v56, v189
	s_delay_alu instid0(VALU_DEP_2) | instskip(NEXT) | instid1(VALU_DEP_2)
	v_mul_f16_e64 v189, v190, v189
	v_fmac_f16_e64 v191, v190, v185
	s_delay_alu instid0(VALU_DEP_2) | instskip(SKIP_1) | instid1(VALU_DEP_2)
	v_fma_f16 v53, v56, v185, -v189
	v_add_nc_u32_e32 v56, 0x600, v66
	v_pack_b32_f16 v53, v53, v191
	ds_store_2addr_b32 v56, v53, v46 offset0:84 offset1:162
	v_lshrrev_b32_e32 v46, 16, v52
	v_lshrrev_b32_e32 v53, 16, v57
	s_delay_alu instid0(VALU_DEP_1) | instskip(SKIP_1) | instid1(VALU_DEP_2)
	v_mul_f16_e32 v56, v46, v53
	v_mul_f16_e32 v53, v52, v53
	v_fma_f16 v56, v52, v57, -v56
	s_delay_alu instid0(VALU_DEP_2) | instskip(SKIP_2) | instid1(VALU_DEP_3)
	v_fmac_f16_e32 v53, v46, v57
	v_lshrrev_b32_e32 v46, 16, v51
	v_lshrrev_b32_e32 v52, 16, v54
	v_pack_b32_f16 v53, v56, v53
	s_delay_alu instid0(VALU_DEP_2) | instskip(SKIP_1) | instid1(VALU_DEP_2)
	v_mul_f16_e32 v57, v52, v46
	v_mul_f16_e32 v46, v54, v46
	v_fma_f16 v54, v54, v51, -v57
	s_delay_alu instid0(VALU_DEP_2)
	v_fmac_f16_e32 v46, v52, v51
	ds_load_2addr_b32 v[51:52], v66 offset0:104 offset1:156
	v_lshrrev_b32_e32 v57, 16, v59
	v_pack_b32_f16 v46, v54, v46
	s_wait_dscnt 0x0
	v_lshrrev_b32_e32 v185, 16, v51
	s_delay_alu instid0(VALU_DEP_3) | instskip(NEXT) | instid1(VALU_DEP_2)
	v_mul_f16_e64 v186, v51, v57
	v_mul_f16_e64 v57, v185, v57
	s_delay_alu instid0(VALU_DEP_2) | instskip(NEXT) | instid1(VALU_DEP_2)
	v_fmac_f16_e64 v186, v185, v59
	v_fma_f16 v57, v51, v59, -v57
	v_lshrrev_b32_e32 v51, 16, v60
	v_lshrrev_b32_e32 v59, 16, v52
	s_delay_alu instid0(VALU_DEP_3) | instskip(NEXT) | instid1(VALU_DEP_3)
	v_pack_b32_f16 v56, v57, v186
	v_mul_f16_e64 v187, v52, v51
	s_delay_alu instid0(VALU_DEP_3) | instskip(NEXT) | instid1(VALU_DEP_2)
	v_mul_f16_e64 v185, v59, v51
	v_fmac_f16_e64 v187, v59, v60
	s_delay_alu instid0(VALU_DEP_2) | instskip(SKIP_4) | instid1(VALU_DEP_2)
	v_fma_f16 v185, v52, v60, -v185
	ds_load_2addr_b32 v[51:52], v49 offset0:138 offset1:190
	v_lshrrev_b32_e32 v59, 16, v65
	s_wait_dscnt 0x0
	v_lshrrev_b32_e32 v60, 16, v51
	v_mul_f16_e64 v189, v51, v59
	s_delay_alu instid0(VALU_DEP_2) | instskip(NEXT) | instid1(VALU_DEP_2)
	v_mul_f16_e32 v59, v60, v59
	v_fmac_f16_e64 v189, v60, v65
	v_lshrrev_b32_e32 v60, 16, v52
	s_delay_alu instid0(VALU_DEP_3) | instskip(SKIP_1) | instid1(VALU_DEP_1)
	v_fma_f16 v59, v51, v65, -v59
	v_lshrrev_b32_e32 v51, 16, v182
	v_mul_f16_e32 v65, v60, v51
	v_mul_f16_e64 v190, v52, v51
	s_delay_alu instid0(VALU_DEP_2)
	v_fma_f16 v65, v52, v182, -v65
	ds_load_2addr_b32 v[51:52], v50 offset0:80 offset1:132
	v_fmac_f16_e64 v190, v60, v182
	v_lshrrev_b32_e32 v60, 16, v61
	s_wait_dscnt 0x0
	v_lshrrev_b32_e32 v182, 16, v51
	s_delay_alu instid0(VALU_DEP_2) | instskip(NEXT) | instid1(VALU_DEP_2)
	v_mul_f16_e64 v191, v51, v60
	v_mul_f16_e64 v60, v182, v60
	s_delay_alu instid0(VALU_DEP_2) | instskip(NEXT) | instid1(VALU_DEP_2)
	v_fmac_f16_e64 v191, v182, v61
	v_fma_f16 v60, v51, v61, -v60
	v_lshrrev_b32_e32 v51, 16, v62
	v_lshrrev_b32_e32 v61, 16, v52
	s_delay_alu instid0(VALU_DEP_2) | instskip(NEXT) | instid1(VALU_DEP_2)
	v_mul_f16_e64 v192, v52, v51
	v_mul_f16_e64 v182, v61, v51
	s_delay_alu instid0(VALU_DEP_2) | instskip(NEXT) | instid1(VALU_DEP_2)
	v_fmac_f16_e64 v192, v61, v62
	v_fma_f16 v182, v52, v62, -v182
	ds_load_2addr_b32 v[51:52], v48 offset0:114 offset1:166
	v_lshrrev_b32_e32 v61, 16, v183
	s_wait_dscnt 0x0
	v_lshrrev_b32_e32 v62, 16, v51
	s_delay_alu instid0(VALU_DEP_2) | instskip(NEXT) | instid1(VALU_DEP_2)
	v_mul_f16_e64 v193, v51, v61
	v_mul_f16_e32 v61, v62, v61
	s_delay_alu instid0(VALU_DEP_2) | instskip(SKIP_1) | instid1(VALU_DEP_3)
	v_fmac_f16_e64 v193, v62, v183
	v_lshrrev_b32_e32 v62, 16, v52
	v_fma_f16 v61, v51, v183, -v61
	v_lshrrev_b32_e32 v51, 16, v184
	s_delay_alu instid0(VALU_DEP_1) | instskip(SKIP_1) | instid1(VALU_DEP_2)
	v_mul_f16_e64 v183, v62, v51
	v_mul_f16_e64 v194, v52, v51
	v_fma_f16 v183, v52, v184, -v183
	ds_load_2addr_b32 v[51:52], v47 offset0:56 offset1:108
	v_fmac_f16_e64 v194, v62, v184
	v_lshrrev_b32_e32 v62, 16, v63
	s_wait_dscnt 0x0
	v_lshrrev_b32_e32 v184, 16, v51
	s_delay_alu instid0(VALU_DEP_2) | instskip(NEXT) | instid1(VALU_DEP_2)
	v_mul_f16_e64 v195, v51, v62
	v_mul_f16_e64 v62, v184, v62
	s_delay_alu instid0(VALU_DEP_2) | instskip(NEXT) | instid1(VALU_DEP_2)
	v_fmac_f16_e64 v195, v184, v63
	v_fma_f16 v62, v51, v63, -v62
	v_lshrrev_b32_e32 v51, 16, v64
	v_lshrrev_b32_e32 v63, 16, v52
	s_delay_alu instid0(VALU_DEP_2) | instskip(NEXT) | instid1(VALU_DEP_2)
	v_mul_f16_e64 v196, v52, v51
	v_mul_f16_e64 v184, v63, v51
	s_delay_alu instid0(VALU_DEP_2) | instskip(NEXT) | instid1(VALU_DEP_2)
	v_fmac_f16_e64 v196, v63, v64
	v_fma_f16 v184, v52, v64, -v184
	s_clause 0x3
	global_load_b32 v63, v66, s[2:3] offset:3432
	global_load_b32 v64, v66, s[2:3] offset:3640
	;; [unrolled: 1-line block ×4, first 2 shown]
	ds_load_2addr_b32 v[51:52], v58 offset0:90 offset1:142
	ds_store_2addr_b32 v66, v53, v56 offset0:52 offset1:104
	v_pack_b32_f16 v53, v59, v189
	ds_store_2addr_b32 v49, v46, v53 offset0:86 offset1:138
	v_pack_b32_f16 v46, v185, v187
	v_pack_b32_f16 v53, v60, v191
	ds_store_2addr_b32 v66, v46, v53 offset0:156 offset1:208
	v_pack_b32_f16 v46, v65, v190
	v_pack_b32_f16 v53, v61, v193
	s_wait_dscnt 0x3
	v_lshrrev_b32_e32 v200, 16, v51
	ds_store_2addr_b32 v49, v46, v53 offset0:190 offset1:242
	v_pack_b32_f16 v46, v182, v192
	v_pack_b32_f16 v53, v62, v195
	ds_store_2addr_b32 v47, v46, v53 offset0:4 offset1:56
	v_pack_b32_f16 v46, v183, v194
	s_wait_loadcnt 0x3
	v_lshrrev_b32_e32 v199, 16, v63
	s_delay_alu instid0(VALU_DEP_1) | instskip(SKIP_1) | instid1(VALU_DEP_2)
	v_mul_f16_e64 v201, v51, v199
	v_mul_f16_e64 v199, v200, v199
	v_fmac_f16_e64 v201, v200, v63
	s_delay_alu instid0(VALU_DEP_2) | instskip(SKIP_3) | instid1(VALU_DEP_3)
	v_fma_f16 v63, v51, v63, -v199
	s_wait_loadcnt 0x2
	v_lshrrev_b32_e32 v51, 16, v64
	v_lshrrev_b32_e32 v199, 16, v52
	v_pack_b32_f16 v53, v63, v201
	s_delay_alu instid0(VALU_DEP_3) | instskip(NEXT) | instid1(VALU_DEP_3)
	v_mul_f16_e64 v202, v52, v51
	v_mul_f16_e64 v200, v199, v51
	v_lshrrev_b32_e32 v51, 16, v188
	ds_store_2addr_b32 v58, v46, v53 offset0:38 offset1:90
	v_fmac_f16_e64 v202, v199, v64
	v_fma_f16 v200, v52, v64, -v200
	v_lshrrev_b32_e32 v52, 16, v55
	v_mul_f16_e64 v199, v55, v51
	v_pack_b32_f16 v46, v184, v196
	s_delay_alu instid0(VALU_DEP_3) | instskip(NEXT) | instid1(VALU_DEP_3)
	v_mul_f16_e32 v64, v52, v51
	v_fmac_f16_e64 v199, v52, v188
	ds_load_2addr_b32 v[51:52], v58 offset0:194 offset1:246
	v_fma_f16 v55, v55, v188, -v64
	s_wait_loadcnt 0x1
	v_lshrrev_b32_e32 v64, 16, v197
	s_delay_alu instid0(VALU_DEP_2)
	v_pack_b32_f16 v53, v55, v199
	ds_store_2addr_b32 v47, v46, v53 offset0:108 offset1:160
	v_pack_b32_f16 v46, v200, v202
	s_wait_dscnt 0x1
	v_lshrrev_b32_e32 v188, 16, v51
	v_mul_f16_e64 v203, v51, v64
	s_delay_alu instid0(VALU_DEP_2) | instskip(NEXT) | instid1(VALU_DEP_2)
	v_mul_f16_e64 v64, v188, v64
	v_fmac_f16_e64 v203, v188, v197
	v_lshrrev_b32_e32 v188, 16, v52
	s_delay_alu instid0(VALU_DEP_3) | instskip(SKIP_2) | instid1(VALU_DEP_2)
	v_fma_f16 v51, v51, v197, -v64
	s_wait_loadcnt 0x0
	v_lshrrev_b32_e32 v64, 16, v198
	v_pack_b32_f16 v51, v51, v203
	s_delay_alu instid0(VALU_DEP_2) | instskip(SKIP_4) | instid1(VALU_DEP_1)
	v_mul_f16_e64 v197, v188, v64
	v_mul_f16_e32 v64, v52, v64
	ds_store_2addr_b32 v58, v46, v51 offset0:142 offset1:194
	v_fma_f16 v52, v52, v198, -v197
	v_fmac_f16_e64 v64, v188, v198
	v_pack_b32_f16 v46, v52, v64
	ds_store_b32 v66, v46 offset:4056
	s_and_saveexec_b32 s1, vcc_lo
	s_cbranch_execz .LBB0_17
; %bb.16:
	s_wait_alu 0xfffe
	v_add_co_u32 v51, s2, s2, v66
	s_wait_alu 0xf1ff
	v_add_co_ci_u32_e64 v52, null, s3, 0, s2
	s_clause 0x1
	global_load_b32 v46, v[51:52], off offset:2080
	global_load_b32 v51, v[51:52], off offset:4264
	ds_load_b32 v52, v66 offset:2080
	ds_load_b32 v53, v66 offset:4264
	s_wait_dscnt 0x1
	v_lshrrev_b32_e32 v54, 16, v52
	s_wait_dscnt 0x0
	v_lshrrev_b32_e32 v56, 16, v53
	s_wait_loadcnt 0x1
	v_lshrrev_b32_e32 v55, 16, v46
	s_wait_loadcnt 0x0
	v_lshrrev_b32_e32 v57, 16, v51
	s_delay_alu instid0(VALU_DEP_2) | instskip(SKIP_1) | instid1(VALU_DEP_3)
	v_mul_f16_e32 v59, v54, v55
	v_mul_f16_e32 v55, v52, v55
	;; [unrolled: 1-line block ×4, first 2 shown]
	s_delay_alu instid0(VALU_DEP_4) | instskip(NEXT) | instid1(VALU_DEP_4)
	v_fma_f16 v52, v52, v46, -v59
	v_fmac_f16_e32 v55, v54, v46
	s_delay_alu instid0(VALU_DEP_4) | instskip(NEXT) | instid1(VALU_DEP_4)
	v_fma_f16 v46, v53, v51, -v60
	v_fmac_f16_e32 v57, v56, v51
	s_delay_alu instid0(VALU_DEP_3) | instskip(NEXT) | instid1(VALU_DEP_2)
	v_pack_b32_f16 v51, v52, v55
	v_pack_b32_f16 v46, v46, v57
	ds_store_b32 v66, v51 offset:2080
	ds_store_b32 v66, v46 offset:4264
.LBB0_17:
	s_wait_alu 0xfffe
	s_or_b32 exec_lo, exec_lo, s1
	global_wb scope:SCOPE_SE
	s_wait_dscnt 0x0
	s_barrier_signal -1
	s_barrier_wait -1
	global_inv scope:SCOPE_SE
	ds_load_2addr_b32 v[54:55], v66 offset1:52
	ds_load_2addr_b32 v[60:61], v49 offset0:34 offset1:86
	ds_load_2addr_b32 v[52:53], v66 offset0:104 offset1:156
	ds_load_2addr_b32 v[62:63], v49 offset0:138 offset1:190
	ds_load_2addr_b32 v[50:51], v50 offset0:80 offset1:132
	ds_load_2addr_b32 v[64:65], v48 offset0:114 offset1:166
	ds_load_2addr_b32 v[48:49], v47 offset0:56 offset1:108
	ds_load_2addr_b32 v[56:57], v58 offset0:90 offset1:142
	ds_load_2addr_b32 v[46:47], v47 offset0:160 offset1:212
	ds_load_2addr_b32 v[58:59], v58 offset0:194 offset1:246
	v_lshlrev_b32_e32 v182, 2, v141
	v_lshlrev_b32_e32 v183, 2, v142
	;; [unrolled: 1-line block ×3, first 2 shown]
	s_and_saveexec_b32 s1, vcc_lo
	s_cbranch_execz .LBB0_19
; %bb.18:
	ds_load_b32 v45, v66 offset:2080
	ds_load_b32 v27, v66 offset:4264
	s_wait_dscnt 0x1
	v_lshrrev_b32_e32 v181, 16, v45
	s_wait_dscnt 0x0
	v_lshrrev_b32_e32 v179, 16, v27
.LBB0_19:
	s_wait_alu 0xfffe
	s_or_b32 exec_lo, exec_lo, s1
	s_wait_dscnt 0x8
	v_pk_add_f16 v60, v54, v60 neg_lo:[0,1] neg_hi:[0,1]
	v_pk_add_f16 v185, v55, v61 neg_lo:[0,1] neg_hi:[0,1]
	s_wait_dscnt 0x6
	v_pk_add_f16 v62, v52, v62 neg_lo:[0,1] neg_hi:[0,1]
	v_pk_add_f16 v187, v53, v63 neg_lo:[0,1] neg_hi:[0,1]
	;; [unrolled: 3-line block ×3, first 2 shown]
	v_sub_f16_e32 v27, v45, v27
	v_sub_f16_e64 v65, v181, v179
	s_wait_dscnt 0x0
	v_pk_add_f16 v192, v47, v59 neg_lo:[0,1] neg_hi:[0,1]
	v_pk_fma_f16 v59, v54, 2.0, v60 op_sel_hi:[1,0,1] neg_lo:[0,0,1] neg_hi:[0,0,1]
	v_pk_add_f16 v56, v48, v56 neg_lo:[0,1] neg_hi:[0,1]
	v_pk_fma_f16 v184, v55, 2.0, v185 op_sel_hi:[1,0,1] neg_lo:[0,0,1] neg_hi:[0,0,1]
	;; [unrolled: 2-line block ×4, first 2 shown]
	v_pk_fma_f16 v63, v50, 2.0, v64 op_sel_hi:[1,0,1] neg_lo:[0,0,1] neg_hi:[0,0,1]
	v_fma_f16 v141, v45, 2.0, -v27
	v_fma_f16 v142, v181, 2.0, -v65
	global_wb scope:SCOPE_SE
	s_barrier_signal -1
	s_barrier_wait -1
	global_inv scope:SCOPE_SE
	ds_store_b64 v123, v[59:60]
	ds_store_b64 v124, v[184:185]
	;; [unrolled: 1-line block ×5, first 2 shown]
	v_pk_fma_f16 v187, v51, 2.0, v188 op_sel_hi:[1,0,1] neg_lo:[0,0,1] neg_hi:[0,0,1]
	v_pk_fma_f16 v55, v48, 2.0, v56 op_sel_hi:[1,0,1] neg_lo:[0,0,1] neg_hi:[0,0,1]
	;; [unrolled: 1-line block ×5, first 2 shown]
	ds_store_b64 v126, v[187:188]
	ds_store_b64 v128, v[55:56]
	;; [unrolled: 1-line block ×5, first 2 shown]
	s_and_saveexec_b32 s1, vcc_lo
	s_cbranch_execz .LBB0_21
; %bb.20:
	v_perm_b32 v46, v65, v27, 0x5040100
	v_perm_b32 v45, v142, v141, 0x5040100
	ds_store_b64 v130, v[45:46]
.LBB0_21:
	s_wait_alu 0xfffe
	s_or_b32 exec_lo, exec_lo, s1
	v_add_nc_u32_e32 v45, 0x800, v66
	v_add_nc_u32_e32 v46, 0x200, v66
	;; [unrolled: 1-line block ×5, first 2 shown]
	global_wb scope:SCOPE_SE
	s_wait_dscnt 0x0
	s_barrier_signal -1
	s_barrier_wait -1
	global_inv scope:SCOPE_SE
	ds_load_2addr_b32 v[53:54], v66 offset1:52
	ds_load_2addr_b32 v[63:64], v45 offset0:34 offset1:86
	ds_load_2addr_b32 v[51:52], v66 offset0:104 offset1:156
	;; [unrolled: 1-line block ×9, first 2 shown]
	s_and_saveexec_b32 s1, vcc_lo
	s_cbranch_execz .LBB0_23
; %bb.22:
	ds_load_b32 v141, v66 offset:2080
	ds_load_b32 v27, v66 offset:4264
	s_wait_dscnt 0x1
	v_lshrrev_b32_e32 v142, 16, v141
	s_wait_dscnt 0x0
	v_lshrrev_b32_e32 v65, 16, v27
.LBB0_23:
	s_wait_alu 0xfffe
	s_or_b32 exec_lo, exec_lo, s1
	s_wait_dscnt 0x8
	v_lshrrev_b32_e32 v124, 16, v63
	v_lshrrev_b32_e32 v126, 16, v64
	s_wait_dscnt 0x6
	v_lshrrev_b32_e32 v129, 16, v61
	v_mul_f16_e64 v191, v144, v63
	v_mul_f16_e64 v194, v144, v64
	;; [unrolled: 1-line block ×4, first 2 shown]
	v_lshrrev_b32_e32 v143, 16, v62
	s_wait_dscnt 0x4
	v_lshrrev_b32_e32 v180, 16, v59
	s_wait_dscnt 0x2
	v_lshrrev_b32_e32 v184, 16, v57
	v_fmac_f16_e64 v190, v122, v63
	v_fma_f16 v63, v122, v124, -v191
	v_fmac_f16_e64 v192, v122, v64
	v_mul_f16_e64 v64, v144, v129
	v_fma_f16 v124, v122, v126, -v194
	v_mul_f16_e64 v126, v144, v61
	v_mul_f16_e64 v191, v144, v143
	;; [unrolled: 1-line block ×3, first 2 shown]
	v_lshrrev_b32_e32 v182, 16, v60
	v_fmac_f16_e32 v64, v122, v61
	v_mul_f16_e64 v61, v144, v180
	v_fma_f16 v126, v122, v129, -v126
	v_mul_f16_e64 v129, v144, v59
	v_lshrrev_b32_e32 v186, 16, v58
	v_fmac_f16_e64 v191, v122, v62
	v_fma_f16 v62, v122, v143, -v194
	v_mul_f16_e64 v194, v144, v184
	s_wait_dscnt 0x0
	v_lshrrev_b32_e32 v188, 16, v55
	v_fmac_f16_e32 v61, v122, v59
	v_mul_f16_e64 v59, v144, v182
	v_mul_f16_e64 v143, v144, v60
	v_fma_f16 v129, v122, v180, -v129
	v_mul_f16_e64 v180, v144, v57
	v_lshrrev_b32_e32 v193, 16, v56
	v_fmac_f16_e64 v194, v122, v57
	v_mul_f16_e64 v57, v144, v186
	v_fmac_f16_e32 v59, v122, v60
	v_fma_f16 v60, v122, v182, -v143
	v_fma_f16 v143, v122, v184, -v180
	v_mul_f16_e64 v182, v144, v188
	v_mul_f16_e64 v184, v144, v55
	;; [unrolled: 1-line block ×3, first 2 shown]
	v_fmac_f16_e32 v57, v122, v58
	v_mul_f16_e64 v58, v144, v193
	v_sub_f16_e32 v61, v45, v61
	v_lshrrev_b32_e32 v123, 16, v53
	v_lshrrev_b32_e32 v125, 16, v54
	;; [unrolled: 1-line block ×3, first 2 shown]
	v_fmac_f16_e64 v182, v122, v55
	v_fma_f16 v55, v122, v188, -v184
	v_mul_f16_e64 v184, v144, v56
	v_lshrrev_b32_e32 v130, 16, v52
	v_lshrrev_b32_e32 v179, 16, v45
	v_fmac_f16_e32 v58, v122, v56
	v_mul_f16_e64 v56, v144, v65
	v_sub_f16_e32 v64, v51, v64
	v_fma_f16 v201, v45, 2.0, -v61
	v_sub_f16_e64 v45, v49, v194
	v_lshrrev_b32_e32 v181, 16, v46
	v_fma_f16 v180, v122, v186, -v180
	v_mul_f16_e64 v144, v144, v27
	v_sub_f16_e64 v186, v53, v190
	v_sub_f16_e32 v63, v123, v63
	v_lshrrev_b32_e32 v183, 16, v49
	v_sub_f16_e64 v188, v54, v192
	v_sub_f16_e64 v192, v125, v124
	v_lshrrev_b32_e32 v185, 16, v50
	v_fma_f16 v184, v122, v193, -v184
	v_sub_f16_e64 v193, v128, v126
	v_lshrrev_b32_e32 v187, 16, v47
	v_sub_f16_e64 v191, v52, v191
	v_sub_f16_e64 v62, v130, v62
	v_lshrrev_b32_e32 v189, 16, v48
	v_fmac_f16_e32 v56, v122, v27
	v_fma_f16 v196, v51, 2.0, -v64
	v_sub_f16_e64 v199, v179, v129
	v_sub_f16_e32 v51, v50, v57
	v_fma_f16 v57, v49, 2.0, -v45
	v_sub_f16_e64 v49, v47, v182
	v_fma_f16 v144, v122, v65, -v144
	v_fma_f16 v53, v53, 2.0, -v186
	v_fma_f16 v190, v123, 2.0, -v63
	v_sub_f16_e32 v59, v46, v59
	v_sub_f16_e64 v60, v181, v60
	v_fma_f16 v54, v54, 2.0, -v188
	v_fma_f16 v195, v125, 2.0, -v192
	v_sub_f16_e64 v65, v183, v143
	v_fma_f16 v197, v128, 2.0, -v193
	v_sub_f16_e64 v128, v185, v180
	v_fma_f16 v198, v52, 2.0, -v191
	v_fma_f16 v200, v130, 2.0, -v62
	v_sub_f16_e64 v125, v187, v55
	v_fma_f16 v179, v179, 2.0, -v199
	v_fma_f16 v52, v47, 2.0, -v49
	v_sub_f16_e32 v47, v48, v58
	v_sub_f16_e64 v122, v189, v184
	v_sub_f16_e64 v27, v141, v56
	v_fma_f16 v202, v46, 2.0, -v59
	v_fma_f16 v181, v181, 2.0, -v60
	v_sub_f16_e64 v126, v142, v144
	v_pack_b32_f16 v53, v53, v190
	v_pack_b32_f16 v55, v186, v63
	v_fma_f16 v143, v183, 2.0, -v65
	v_pack_b32_f16 v54, v54, v195
	v_pack_b32_f16 v56, v188, v192
	v_fma_f16 v46, v50, 2.0, -v51
	v_fma_f16 v130, v185, 2.0, -v128
	v_pack_b32_f16 v58, v196, v197
	v_pack_b32_f16 v63, v64, v193
	v_fma_f16 v129, v187, 2.0, -v125
	v_pack_b32_f16 v64, v198, v200
	v_pack_b32_f16 v62, v191, v62
	v_fma_f16 v50, v48, 2.0, -v47
	v_fma_f16 v124, v189, 2.0, -v122
	;; [unrolled: 1-line block ×3, first 2 shown]
	v_pack_b32_f16 v141, v201, v179
	v_pack_b32_f16 v61, v61, v199
	v_fma_f16 v123, v142, 2.0, -v126
	global_wb scope:SCOPE_SE
	s_barrier_signal -1
	s_barrier_wait -1
	global_inv scope:SCOPE_SE
	ds_store_2addr_b32 v136, v53, v55 offset1:2
	ds_store_2addr_b32 v137, v54, v56 offset1:2
	;; [unrolled: 1-line block ×5, first 2 shown]
	v_pack_b32_f16 v53, v202, v181
	v_pack_b32_f16 v54, v59, v60
	;; [unrolled: 1-line block ×10, first 2 shown]
	ds_store_2addr_b32 v131, v53, v54 offset1:2
	ds_store_2addr_b32 v132, v55, v56 offset1:2
	;; [unrolled: 1-line block ×5, first 2 shown]
	s_and_saveexec_b32 s1, vcc_lo
	s_cbranch_execz .LBB0_25
; %bb.24:
	v_and_or_b32 v53, 0x47c, v127, v121
	v_perm_b32 v54, v123, v48, 0x5040100
	v_perm_b32 v55, v126, v27, 0x5040100
	s_delay_alu instid0(VALU_DEP_3)
	v_lshlrev_b32_e32 v53, 2, v53
	ds_store_2addr_b32 v53, v54, v55 offset1:2
.LBB0_25:
	s_wait_alu 0xfffe
	s_or_b32 exec_lo, exec_lo, s1
	v_add_nc_u32_e32 v132, 0x400, v66
	v_add_nc_u32_e32 v55, 0x600, v66
	;; [unrolled: 1-line block ×4, first 2 shown]
	global_wb scope:SCOPE_SE
	s_wait_dscnt 0x0
	s_barrier_signal -1
	s_barrier_wait -1
	global_inv scope:SCOPE_SE
	ds_load_2addr_b32 v[53:54], v66 offset1:84
	ds_load_2addr_b32 v[63:64], v66 offset0:168 offset1:252
	ds_load_2addr_b32 v[61:62], v132 offset0:80 offset1:164
	;; [unrolled: 1-line block ×5, first 2 shown]
	ds_load_b32 v121, v66 offset:4032
	s_and_saveexec_b32 s1, s0
	s_cbranch_execz .LBB0_27
; %bb.26:
	v_add_nc_u32_e32 v27, 0x200, v66
	v_add_nc_u32_e32 v28, 0xa00, v66
	ds_load_2addr_b32 v[45:46], v66 offset0:52 offset1:136
	ds_load_2addr_b32 v[49:50], v132 offset0:132 offset1:216
	;; [unrolled: 1-line block ×6, first 2 shown]
	ds_load_b32 v150, v66 offset:4240
	s_wait_dscnt 0x6
	v_lshrrev_b32_e32 v65, 16, v45
	v_lshrrev_b32_e32 v130, 16, v46
	s_wait_dscnt 0x5
	v_lshrrev_b32_e32 v125, 16, v49
	v_lshrrev_b32_e32 v124, 16, v50
	;; [unrolled: 3-line block ×6, first 2 shown]
	s_wait_dscnt 0x0
	v_lshrrev_b32_e32 v151, 16, v150
.LBB0_27:
	s_wait_alu 0xfffe
	s_or_b32 exec_lo, exec_lo, s1
	s_wait_dscnt 0x6
	v_lshrrev_b32_e32 v131, 16, v54
	s_wait_dscnt 0x5
	v_lshrrev_b32_e32 v132, 16, v63
	v_lshrrev_b32_e32 v133, 16, v64
	v_mul_f16_e64 v144, v119, v54
	v_mul_f16_e64 v180, v117, v63
	;; [unrolled: 1-line block ×5, first 2 shown]
	v_lshrrev_b32_e32 v127, 16, v53
	s_wait_dscnt 0x4
	v_lshrrev_b32_e32 v134, 16, v61
	v_fmac_f16_e64 v142, v4, v54
	v_fma_f16 v54, v4, v131, -v144
	v_fma_f16 v131, v5, v132, -v180
	v_mul_f16_e64 v132, v115, v64
	v_lshrrev_b32_e32 v135, 16, v62
	v_fmac_f16_e64 v181, v6, v64
	v_mul_f16_e32 v64, v113, v61
	s_wait_dscnt 0x3
	v_lshrrev_b32_e32 v136, 16, v59
	v_fma_f16 v132, v6, v133, -v132
	v_mul_f16_e64 v133, v111, v62
	v_fmac_f16_e64 v179, v5, v63
	v_mul_f16_e64 v144, v113, v134
	v_mul_f16_e64 v63, v111, v135
	v_fma_f16 v134, v7, v134, -v64
	v_fma_f16 v64, v0, v135, -v133
	v_add_f16_e64 v133, v53, v142
	v_add_f16_e64 v135, v127, v54
	v_lshrrev_b32_e32 v137, 16, v60
	s_wait_dscnt 0x2
	v_lshrrev_b32_e32 v138, 16, v57
	v_fmac_f16_e64 v144, v7, v61
	v_fmac_f16_e32 v63, v0, v62
	v_mul_f16_e64 v61, v109, v136
	v_mul_f16_e32 v62, v109, v59
	v_add_f16_e64 v133, v133, v179
	v_add_f16_e64 v135, v135, v131
	v_mul_f16_e64 v180, v112, v138
	v_fmac_f16_e32 v61, v1, v59
	v_mul_f16_e64 v59, v110, v137
	v_fma_f16 v62, v1, v136, -v62
	v_mul_f16_e64 v136, v110, v60
	v_add_f16_e64 v133, v133, v181
	v_add_f16_e64 v135, v135, v132
	v_lshrrev_b32_e32 v139, 16, v58
	v_fmac_f16_e32 v59, v2, v60
	v_fma_f16 v60, v2, v137, -v136
	v_mul_f16_e64 v136, v112, v57
	v_fmac_f16_e64 v180, v3, v57
	v_add_f16_e64 v57, v133, v144
	v_add_f16_e64 v133, v135, v134
	s_wait_dscnt 0x1
	v_lshrrev_b32_e32 v140, 16, v55
	v_mul_f16_e64 v135, v114, v139
	v_fma_f16 v136, v3, v138, -v136
	v_add_f16_e32 v57, v57, v63
	v_add_f16_e64 v133, v133, v64
	v_mul_f16_e64 v137, v114, v58
	v_fmac_f16_e64 v135, v8, v58
	v_mul_f16_e64 v58, v116, v140
	v_add_f16_e32 v57, v57, v61
	v_add_f16_e64 v133, v133, v62
	v_mul_f16_e64 v138, v116, v55
	v_lshrrev_b32_e32 v141, 16, v56
	s_wait_dscnt 0x0
	v_lshrrev_b32_e32 v143, 16, v121
	v_fmac_f16_e32 v58, v9, v55
	v_add_f16_e32 v55, v57, v59
	v_add_f16_e64 v57, v133, v60
	v_fma_f16 v133, v9, v140, -v138
	v_mul_f16_e64 v138, v120, v121
	v_fma_f16 v137, v8, v139, -v137
	v_mul_f16_e64 v139, v118, v141
	v_add_f16_e64 v55, v55, v180
	v_add_f16_e64 v57, v57, v136
	v_mul_f16_e64 v140, v120, v143
	v_fma_f16 v138, v11, v143, -v138
	v_fmac_f16_e64 v139, v10, v56
	v_mul_f16_e32 v56, v118, v56
	v_add_f16_e64 v55, v55, v135
	v_add_f16_e64 v57, v57, v137
	v_fmac_f16_e64 v140, v11, v121
	v_sub_f16_e64 v121, v54, v138
	v_fma_f16 v56, v10, v141, -v56
	v_add_f16_e32 v55, v55, v58
	v_add_f16_e64 v57, v57, v133
	v_add_f16_e64 v141, v142, v140
	v_mul_f16_e64 v143, 0xb770, v121
	v_add_f16_e64 v182, v54, v138
	v_add_f16_e64 v54, v55, v139
	v_add_f16_e32 v55, v57, v56
	v_sub_f16_e64 v57, v142, v140
	v_fma_f16 v142, 0x3b15, v141, v143
	v_sub_f16_e64 v200, v131, v56
	v_mul_f16_e64 v183, 0x3b15, v182
	v_add_f16_e64 v55, v55, v138
	v_mul_f16_e64 v184, 0x388b, v182
	v_add_f16_e64 v138, v53, v142
	v_mul_f16_e64 v142, 0xba95, v121
	v_mul_f16_e64 v187, 0xbbf1, v121
	;; [unrolled: 1-line block ×7, first 2 shown]
	v_mul_f16_e32 v121, 0xb3a8, v121
	v_mul_f16_e64 v182, 0xbbc4, v182
	v_add_f16_e64 v202, v179, v139
	v_mul_f16_e64 v203, 0xba95, v200
	v_add_f16_e64 v56, v131, v56
	v_add_f16_e64 v54, v54, v140
	v_fma_f16 v140, 0x3770, v57, v183
	v_fma_f16 v143, v141, 0x3b15, -v143
	v_fmac_f16_e64 v183, 0xb770, v57
	v_fma_f16 v185, 0x388b, v141, v142
	v_fma_f16 v186, 0x3a95, v57, v184
	v_fma_f16 v142, v141, 0x388b, -v142
	v_fmac_f16_e64 v184, 0xba95, v57
	v_fma_f16 v188, 0x2fb7, v141, v187
	;; [unrolled: 4-line block ×5, first 2 shown]
	v_fma_f16 v201, 0x33a8, v57, v182
	v_fma_f16 v121, v141, 0xbbc4, -v121
	v_fmac_f16_e64 v182, 0xb3a8, v57
	v_sub_f16_e64 v57, v179, v139
	v_fma_f16 v131, 0x388b, v202, v203
	v_mul_f16_e64 v139, 0x388b, v56
	v_add_f16_e64 v140, v127, v140
	v_add_f16_e64 v143, v53, v143
	;; [unrolled: 1-line block ×21, first 2 shown]
	v_add_f16_e32 v53, v53, v121
	v_add_f16_e64 v121, v127, v182
	v_add_f16_e64 v127, v131, v138
	v_fma_f16 v131, 0x3a95, v57, v139
	v_mul_f16_e64 v138, 0xbb7b, v200
	v_fma_f16 v179, v202, 0x388b, -v203
	v_fmac_f16_e64 v139, 0xba95, v57
	v_mul_f16_e64 v182, 0xb5ac, v56
	v_add_f16_e64 v131, v131, v140
	v_fma_f16 v140, 0xb5ac, v202, v138
	v_add_f16_e64 v143, v179, v143
	v_add_f16_e64 v139, v139, v183
	v_fma_f16 v179, 0x3b7b, v57, v182
	v_mul_f16_e64 v183, 0xb3a8, v200
	v_fma_f16 v138, v202, 0xb5ac, -v138
	v_fmac_f16_e64 v182, 0xbb7b, v57
	v_add_f16_e64 v140, v140, v185
	v_add_f16_e64 v179, v179, v186
	v_fma_f16 v185, 0xbbc4, v202, v183
	v_mul_f16_e64 v186, 0xbbc4, v56
	v_add_f16_e64 v138, v138, v142
	v_add_f16_e64 v142, v182, v184
	v_mul_f16_e64 v182, 0x394e, v200
	v_add_f16_e64 v184, v185, v188
	v_fma_f16 v185, 0x33a8, v57, v186
	v_fma_f16 v183, v202, 0xbbc4, -v183
	v_fmac_f16_e64 v186, 0xb3a8, v57
	v_fma_f16 v188, 0xb9fd, v202, v182
	v_mul_f16_e64 v201, 0xb9fd, v56
	v_add_f16_e64 v185, v185, v191
	v_add_f16_e64 v183, v183, v187
	;; [unrolled: 1-line block ×4, first 2 shown]
	v_fma_f16 v188, 0xb94e, v57, v201
	v_mul_f16_e64 v189, 0x3bf1, v200
	v_fma_f16 v182, v202, 0xb9fd, -v182
	v_mul_f16_e64 v191, 0x2fb7, v56
	v_mul_f16_e32 v56, 0x3b15, v56
	v_add_f16_e64 v188, v188, v194
	v_fma_f16 v192, 0x2fb7, v202, v189
	v_mul_f16_e64 v194, 0x3770, v200
	v_fma_f16 v189, v202, 0x2fb7, -v189
	v_add_f16_e64 v182, v182, v190
	v_fma_f16 v190, 0xbbf1, v57, v191
	v_add_f16_e64 v192, v192, v197
	v_fmac_f16_e64 v191, 0x3bf1, v57
	v_fma_f16 v197, 0x3b15, v202, v194
	v_add_f16_e64 v189, v189, v195
	v_sub_f16_e64 v195, v132, v133
	v_add_f16_e64 v190, v190, v198
	v_add_f16_e64 v191, v191, v196
	;; [unrolled: 1-line block ×4, first 2 shown]
	v_mul_f16_e64 v199, 0xbbf1, v195
	v_add_f16_e64 v132, v132, v133
	v_fmac_f16_e64 v201, 0x394e, v57
	v_fma_f16 v197, 0xb770, v57, v56
	v_fma_f16 v133, v202, 0x3b15, -v194
	v_fmac_f16_e32 v56, 0x3770, v57
	v_sub_f16_e64 v57, v181, v58
	v_fma_f16 v58, 0x2fb7, v198, v199
	v_mul_f16_e64 v181, 0x2fb7, v132
	v_add_f16_e64 v53, v133, v53
	v_add_f16_e32 v56, v56, v121
	v_fma_f16 v133, v198, 0x2fb7, -v199
	v_add_f16_e32 v58, v58, v127
	v_fma_f16 v121, 0x3bf1, v57, v181
	v_mul_f16_e64 v127, 0xb3a8, v195
	v_fmac_f16_e64 v181, 0xbbf1, v57
	v_mul_f16_e64 v194, 0xbbc4, v132
	v_add_f16_e64 v133, v133, v143
	v_add_f16_e64 v121, v121, v131
	v_fma_f16 v131, 0xbbc4, v198, v127
	v_add_f16_e64 v139, v181, v139
	v_fma_f16 v143, 0x33a8, v57, v194
	v_mul_f16_e64 v181, 0x3b7b, v195
	v_add_f16_e64 v141, v197, v141
	v_add_f16_e64 v131, v131, v140
	v_fma_f16 v127, v198, 0xbbc4, -v127
	v_add_f16_e64 v140, v143, v179
	v_fma_f16 v143, 0xb5ac, v198, v181
	v_mul_f16_e64 v179, 0xb5ac, v132
	v_fmac_f16_e64 v194, 0xb3a8, v57
	v_mul_f16_e64 v197, 0x3b15, v132
	v_add_f16_e64 v127, v127, v138
	v_add_f16_e64 v143, v143, v184
	v_fma_f16 v184, 0xbb7b, v57, v179
	v_fmac_f16_e64 v179, 0x3b7b, v57
	v_add_f16_e64 v138, v194, v142
	v_mul_f16_e64 v142, 0x3770, v195
	v_fma_f16 v181, v198, 0xb5ac, -v181
	v_add_f16_e64 v184, v184, v185
	v_add_f16_e64 v179, v179, v186
	v_fma_f16 v185, 0xb770, v57, v197
	v_mul_f16_e64 v186, 0xba95, v195
	v_fma_f16 v194, 0x3b15, v198, v142
	v_add_f16_e64 v181, v181, v183
	v_fma_f16 v142, v198, 0x3b15, -v142
	v_add_f16_e64 v185, v185, v188
	v_fma_f16 v188, 0x388b, v198, v186
	v_fma_f16 v186, v198, 0x388b, -v186
	v_add_f16_e64 v183, v194, v187
	v_mul_f16_e64 v187, 0x388b, v132
	v_add_f16_e64 v142, v142, v182
	v_mul_f16_e64 v194, 0xb94e, v195
	v_add_f16_e64 v186, v186, v189
	v_sub_f16_e64 v189, v134, v137
	v_fma_f16 v182, 0x3a95, v57, v187
	v_add_f16_e64 v188, v188, v192
	v_fmac_f16_e64 v187, 0xba95, v57
	v_mul_f16_e64 v132, 0xb9fd, v132
	v_add_f16_e64 v192, v144, v135
	v_mul_f16_e64 v195, 0xbb7b, v189
	v_add_f16_e64 v134, v134, v137
	v_fmac_f16_e64 v197, 0x3770, v57
	v_add_f16_e64 v187, v187, v191
	v_fma_f16 v191, 0x394e, v57, v132
	v_fmac_f16_e64 v132, 0xb94e, v57
	v_sub_f16_e64 v57, v144, v135
	v_fma_f16 v135, 0xb5ac, v192, v195
	v_mul_f16_e64 v144, 0xb5ac, v134
	v_fma_f16 v137, v198, 0xb9fd, -v194
	v_add_f16_e64 v56, v132, v56
	v_add_f16_e64 v141, v191, v141
	;; [unrolled: 1-line block ×3, first 2 shown]
	v_fma_f16 v132, 0x3b7b, v57, v144
	v_mul_f16_e64 v135, 0x394e, v189
	v_add_f16_e64 v53, v137, v53
	v_fma_f16 v137, v192, 0xb5ac, -v195
	v_fmac_f16_e64 v144, 0xbb7b, v57
	v_mul_f16_e64 v191, 0xb9fd, v134
	v_add_f16_e64 v121, v132, v121
	v_fma_f16 v132, 0xb9fd, v192, v135
	v_add_f16_e64 v133, v137, v133
	v_add_f16_e64 v137, v144, v139
	v_fma_f16 v139, 0xb94e, v57, v191
	v_mul_f16_e64 v144, 0x3770, v189
	v_add_f16_e64 v131, v132, v131
	v_fma_f16 v132, v192, 0xb9fd, -v135
	v_fmac_f16_e64 v191, 0x394e, v57
	v_add_f16_e64 v135, v139, v140
	v_fma_f16 v139, 0x3b15, v192, v144
	v_mul_f16_e64 v140, 0x3b15, v134
	v_add_f16_e64 v127, v132, v127
	v_add_f16_e64 v132, v191, v138
	v_mul_f16_e64 v138, 0xbbf1, v189
	v_add_f16_e64 v182, v182, v190
	v_fma_f16 v190, 0xb9fd, v198, v194
	v_add_f16_e64 v139, v139, v143
	v_fma_f16 v143, 0xb770, v57, v140
	v_fma_f16 v144, v192, 0x3b15, -v144
	v_fmac_f16_e64 v140, 0x3770, v57
	v_fma_f16 v191, 0x2fb7, v192, v138
	v_mul_f16_e64 v194, 0x2fb7, v134
	v_add_f16_e64 v143, v143, v184
	v_add_f16_e64 v144, v144, v181
	;; [unrolled: 1-line block ×4, first 2 shown]
	v_fma_f16 v181, 0x3bf1, v57, v194
	v_mul_f16_e64 v183, 0x33a8, v189
	v_fma_f16 v138, v192, 0x2fb7, -v138
	v_mul_f16_e64 v184, 0xbbc4, v134
	v_mul_f16_e64 v189, 0x3a95, v189
	v_add_f16_e64 v181, v181, v185
	v_fma_f16 v185, 0xbbc4, v192, v183
	v_add_f16_e64 v138, v138, v142
	v_fma_f16 v142, 0xb3a8, v57, v184
	v_fma_f16 v183, v192, 0xbbc4, -v183
	v_add_f16_e64 v190, v190, v196
	v_add_f16_e64 v185, v185, v188
	v_fmac_f16_e64 v184, 0x33a8, v57
	v_add_f16_e64 v142, v142, v182
	v_fma_f16 v182, 0x388b, v192, v189
	v_add_f16_e64 v183, v183, v186
	v_sub_f16_e64 v186, v64, v136
	v_mul_f16_e64 v134, 0x388b, v134
	v_add_f16_e64 v188, v63, v180
	v_add_f16_e64 v182, v182, v190
	;; [unrolled: 1-line block ×3, first 2 shown]
	v_mul_f16_e64 v190, 0xb94e, v186
	v_fmac_f16_e64 v194, 0xbbf1, v57
	v_add_f16_e64 v184, v184, v187
	v_fma_f16 v187, 0xba95, v57, v134
	v_fmac_f16_e64 v134, 0x3a95, v57
	v_sub_f16_e64 v57, v63, v180
	v_fma_f16 v63, 0xb9fd, v188, v190
	v_mul_f16_e64 v180, 0xb9fd, v64
	v_fma_f16 v136, v192, 0x388b, -v189
	v_add_f16_e64 v56, v134, v56
	v_mul_f16_e64 v134, 0x3bf1, v186
	v_add_f16_e32 v58, v63, v58
	v_fma_f16 v63, 0x394e, v57, v180
	v_add_f16_e64 v141, v187, v141
	v_add_f16_e64 v53, v136, v53
	v_fma_f16 v136, v188, 0xb9fd, -v190
	v_fmac_f16_e64 v180, 0xb94e, v57
	v_mul_f16_e64 v187, 0x2fb7, v64
	v_add_f16_e32 v63, v63, v121
	v_fma_f16 v121, 0x2fb7, v188, v134
	v_add_f16_e64 v133, v136, v133
	v_add_f16_e64 v136, v180, v137
	v_fma_f16 v137, 0xbbf1, v57, v187
	v_mul_f16_e64 v180, 0xba95, v186
	v_add_f16_e64 v121, v121, v131
	v_fma_f16 v131, v188, 0x2fb7, -v134
	v_fmac_f16_e64 v187, 0x3bf1, v57
	v_add_f16_e64 v134, v137, v135
	v_fma_f16 v135, 0x388b, v188, v180
	v_mul_f16_e64 v137, 0x388b, v64
	v_add_f16_e64 v127, v131, v127
	v_add_f16_e64 v131, v187, v132
	v_mul_f16_e64 v132, 0x33a8, v186
	v_add_f16_e64 v135, v135, v139
	v_fma_f16 v139, 0x3a95, v57, v137
	v_fma_f16 v180, v188, 0x388b, -v180
	v_fmac_f16_e64 v137, 0xba95, v57
	v_fma_f16 v187, 0xbbc4, v188, v132
	v_mul_f16_e64 v189, 0xbbc4, v64
	v_add_f16_e64 v139, v139, v143
	v_add_f16_e64 v143, v180, v144
	v_add_f16_e64 v137, v137, v140
	v_add_f16_e64 v140, v187, v179
	v_fma_f16 v144, 0xb3a8, v57, v189
	v_mul_f16_e64 v179, 0x3770, v186
	v_fma_f16 v132, v188, 0xbbc4, -v132
	v_mul_f16_e64 v180, 0x3b15, v64
	v_mul_f16_e64 v186, 0xbb7b, v186
	v_add_f16_e64 v144, v144, v181
	v_fma_f16 v181, 0x3b15, v188, v179
	v_fma_f16 v179, v188, 0x3b15, -v179
	v_add_f16_e64 v132, v132, v138
	v_fma_f16 v138, 0xb770, v57, v180
	v_fmac_f16_e64 v180, 0x3770, v57
	v_add_f16_e64 v181, v181, v185
	v_add_f16_e64 v179, v179, v183
	v_sub_f16_e64 v183, v62, v60
	v_add_f16_e64 v138, v138, v142
	v_fma_f16 v142, 0xb5ac, v188, v186
	v_mul_f16_e32 v64, 0xb5ac, v64
	v_add_f16_e64 v180, v180, v184
	v_add_f16_e64 v184, v61, v59
	v_mul_f16_e64 v185, 0xb3a8, v183
	v_add_f16_e32 v60, v62, v60
	v_fmac_f16_e64 v189, 0x33a8, v57
	v_add_f16_e64 v142, v142, v182
	v_fma_f16 v182, 0x3b7b, v57, v64
	v_fma_f16 v62, v188, 0xb5ac, -v186
	v_fmac_f16_e32 v64, 0xbb7b, v57
	v_sub_f16_e32 v57, v61, v59
	v_fma_f16 v59, 0xbbc4, v184, v185
	v_mul_f16_e32 v61, 0xbbc4, v60
	v_add_f16_e64 v141, v182, v141
	v_add_f16_e32 v53, v62, v53
	v_add_f16_e32 v56, v64, v56
	v_add_f16_e32 v58, v59, v58
	v_fmamk_f16 v59, v57, 0x33a8, v61
	v_mul_f16_e64 v62, 0x3770, v183
	v_fma_f16 v64, v184, 0xbbc4, -v185
	v_fmac_f16_e32 v61, 0xb3a8, v57
	v_mul_f16_e64 v182, 0x3b15, v60
	v_add_f16_e32 v59, v59, v63
	v_fma_f16 v63, 0x3b15, v184, v62
	v_add_f16_e64 v64, v64, v133
	v_add_f16_e64 v61, v61, v136
	v_fma_f16 v133, 0xb770, v57, v182
	v_mul_f16_e64 v136, 0xb94e, v183
	v_fma_f16 v62, v184, 0x3b15, -v62
	v_fmac_f16_e64 v182, 0x3770, v57
	v_add_f16_e32 v63, v63, v121
	v_add_f16_e64 v121, v133, v134
	v_fma_f16 v133, 0xb9fd, v184, v136
	v_mul_f16_e64 v134, 0xb9fd, v60
	v_add_f16_e32 v62, v62, v127
	v_add_f16_e64 v127, v182, v131
	v_mul_f16_e64 v131, 0x3a95, v183
	v_add_f16_e64 v133, v133, v135
	v_fma_f16 v135, 0x394e, v57, v134
	v_fmac_f16_e64 v134, 0xb94e, v57
	v_mul_f16_e64 v185, 0x388b, v60
	v_fma_f16 v182, 0x388b, v184, v131
	v_fma_f16 v136, v184, 0xb9fd, -v136
	v_add_f16_e64 v135, v135, v139
	v_add_f16_e64 v134, v134, v137
	v_fma_f16 v139, 0xba95, v57, v185
	v_add_f16_e64 v137, v182, v140
	v_mul_f16_e64 v140, 0xbb7b, v183
	v_add_f16_e64 v193, v201, v193
	v_add_f16_e64 v136, v136, v143
	v_mul_f16_e64 v143, 0xb5ac, v60
	v_add_f16_e64 v139, v139, v144
	v_fma_f16 v144, 0xb5ac, v184, v140
	v_add_f16_e64 v193, v197, v193
	v_fma_f16 v140, v184, 0xb5ac, -v140
	v_fma_f16 v182, 0x3b7b, v57, v143
	v_mul_f16_e32 v60, 0x2fb7, v60
	v_add_f16_e64 v144, v144, v181
	v_mul_f16_e64 v181, 0x3bf1, v183
	v_add_f16_e64 v191, v194, v193
	v_add_f16_e64 v138, v182, v138
	;; [unrolled: 1-line block ×3, first 2 shown]
	v_fma_f16 v182, 0xbbf1, v57, v60
	v_fma_f16 v179, 0x2fb7, v184, v181
	v_fma_f16 v181, v184, 0x2fb7, -v181
	v_fmac_f16_e32 v60, 0x3bf1, v57
	v_add_f16_e64 v187, v189, v191
	v_fma_f16 v131, v184, 0x388b, -v131
	v_fmac_f16_e64 v185, 0x3a95, v57
	v_fmac_f16_e64 v143, 0xbb7b, v57
	v_pack_b32_f16 v54, v54, v55
	v_pack_b32_f16 v55, v58, v59
	v_add_f16_e64 v142, v179, v142
	v_add_f16_e64 v141, v182, v141
	;; [unrolled: 1-line block ×3, first 2 shown]
	v_add_f16_e32 v56, v60, v56
	v_pack_b32_f16 v58, v63, v121
	v_pack_b32_f16 v59, v133, v135
	v_add_f16_e64 v131, v131, v132
	v_add_f16_e64 v132, v185, v187
	;; [unrolled: 1-line block ×3, first 2 shown]
	global_wb scope:SCOPE_SE
	s_barrier_signal -1
	s_barrier_wait -1
	global_inv scope:SCOPE_SE
	ds_store_2addr_b32 v146, v54, v55 offset1:4
	ds_store_2addr_b32 v146, v58, v59 offset0:8 offset1:12
	v_pack_b32_f16 v54, v137, v139
	v_pack_b32_f16 v55, v144, v138
	;; [unrolled: 1-line block ×9, first 2 shown]
	ds_store_2addr_b32 v146, v54, v55 offset0:16 offset1:20
	ds_store_2addr_b32 v146, v58, v53 offset0:24 offset1:28
	;; [unrolled: 1-line block ×4, first 2 shown]
	ds_store_b32 v146, v61 offset:192
	s_and_saveexec_b32 s1, s0
	s_cbranch_execz .LBB0_29
; %bb.28:
	v_mul_f16_e64 v56, v119, v130
	v_mul_f16_e64 v53, v120, v151
	;; [unrolled: 1-line block ×3, first 2 shown]
	v_mul_f16_e32 v57, v119, v46
	v_mul_f16_e64 v58, v117, v128
	v_fmac_f16_e32 v56, v4, v46
	v_fmac_f16_e64 v53, v11, v150
	v_mul_f16_e64 v54, v118, v148
	v_fma_f16 v46, v11, v151, -v55
	v_fma_f16 v57, v4, v130, -v57
	v_mul_f16_e32 v60, v118, v24
	v_sub_f16_e32 v11, v56, v53
	v_fmac_f16_e32 v58, v5, v51
	v_fmac_f16_e32 v54, v10, v24
	v_mul_f16_e32 v24, v117, v51
	v_mul_f16_e64 v59, v115, v129
	v_mul_f16_e64 v55, v116, v149
	v_add_f16_e32 v118, v46, v57
	v_mul_f16_e32 v119, 0xb94e, v11
	v_sub_f16_e32 v4, v58, v54
	v_fma_f16 v51, v10, v148, -v60
	v_fma_f16 v61, v5, v128, -v24
	v_fmac_f16_e32 v59, v6, v52
	v_fmac_f16_e32 v55, v9, v23
	v_mul_f16_e32 v10, v116, v23
	v_mul_f16_e32 v23, v115, v52
	v_fmamk_f16 v63, v118, 0xb9fd, v119
	v_mul_f16_e32 v115, 0x3bf1, v4
	v_add_f16_e32 v116, v51, v61
	v_sub_f16_e32 v5, v59, v55
	v_fma_f16 v52, v9, v149, -v10
	v_fma_f16 v62, v6, v129, -v23
	v_add_f16_e32 v6, v65, v63
	v_fmamk_f16 v9, v116, 0x2fb7, v115
	v_mul_f16_e32 v117, 0xba95, v5
	v_mul_f16_e32 v63, v113, v125
	v_add_f16_e32 v120, v52, v62
	v_mul_f16_e64 v60, v114, v147
	v_add_f16_e32 v6, v9, v6
	v_mul_f16_e32 v10, v114, v28
	v_fmac_f16_e32 v63, v7, v49
	v_fmamk_f16 v9, v120, 0x388b, v117
	v_fmac_f16_e32 v60, v8, v28
	v_mul_f16_e32 v23, v113, v49
	v_mul_f16_e32 v113, v111, v124
	;; [unrolled: 1-line block ×3, first 2 shown]
	v_add_f16_e32 v9, v9, v6
	v_sub_f16_e32 v6, v63, v60
	v_fma_f16 v49, v8, v147, -v10
	v_fma_f16 v114, v7, v125, -v23
	v_fmac_f16_e32 v113, v0, v50
	v_fmac_f16_e32 v64, v3, v27
	v_mul_f16_e32 v8, v112, v27
	v_mul_f16_e32 v10, v111, v50
	;; [unrolled: 1-line block ×3, first 2 shown]
	v_add_f16_e32 v111, v49, v114
	v_sub_f16_e32 v7, v113, v64
	v_fma_f16 v112, v3, v126, -v8
	v_fma_f16 v121, v0, v124, -v10
	v_sub_f16_e64 v128, v57, v46
	v_fmamk_f16 v0, v111, 0xbbc4, v50
	v_mul_f16_e32 v126, 0x3770, v7
	v_mul_f16_e32 v124, v109, v122
	v_add_f16_e32 v127, v112, v121
	v_mul_f16_e32 v125, v110, v123
	v_add_f16_e32 v8, v0, v9
	v_add_f16_e32 v3, v53, v56
	v_mul_f16_e64 v129, 0xb94e, v128
	v_fmamk_f16 v9, v127, 0x3b15, v126
	v_sub_f16_e64 v130, v61, v51
	v_fmac_f16_e32 v124, v1, v47
	v_fmac_f16_e32 v125, v2, v48
	v_mul_f16_e32 v10, v110, v48
	v_add_f16_e32 v23, v9, v8
	v_fma_f16 v9, v3, 0xb9fd, -v129
	v_add_f16_e32 v8, v54, v58
	v_mul_f16_e64 v132, 0x3bf1, v130
	v_sub_f16_e32 v48, v62, v52
	v_mul_f16_e32 v24, v109, v47
	v_sub_f16_e32 v0, v124, v125
	v_add_f16_e32 v27, v45, v9
	v_fma_f16 v28, v8, 0x2fb7, -v132
	v_add_f16_e32 v9, v55, v59
	v_mul_f16_e32 v109, 0xba95, v48
	v_fma_f16 v110, v2, v123, -v10
	v_sub_f16_e32 v123, v114, v49
	v_fma_f16 v122, v1, v122, -v24
	v_mul_f16_e64 v131, 0xbb7b, v0
	v_add_f16_e32 v1, v28, v27
	v_fma_f16 v10, v9, 0x388b, -v109
	v_add_f16_e32 v2, v60, v63
	v_mul_f16_e64 v133, 0x33a8, v123
	v_add_f16_e64 v134, v110, v122
	v_sub_f16_e64 v135, v121, v112
	v_mul_f16_e32 v27, 0xb3a8, v11
	v_add_f16_e32 v1, v10, v1
	v_fma_f16 v24, v2, 0xbbc4, -v133
	v_add_f16_e32 v10, v64, v113
	v_mul_f16_e64 v136, 0x3770, v135
	v_fmamk_f16 v28, v118, 0xbbc4, v27
	v_mul_f16_e32 v47, 0x3770, v4
	v_fma_f16 v137, 0xb5ac, v134, v131
	v_add_f16_e32 v24, v24, v1
	v_fma_f16 v138, v10, 0x3b15, -v136
	v_add_f16_e32 v28, v65, v28
	v_fma_f16 v139, 0x3b15, v116, v47
	v_mul_f16_e64 v140, 0xb94e, v5
	v_add_f16_e64 v1, v137, v23
	v_sub_f16_e64 v137, v122, v110
	v_add_f16_e64 v24, v138, v24
	v_add_f16_e64 v28, v139, v28
	v_fma_f16 v138, 0xb9fd, v120, v140
	v_mul_f16_e64 v139, 0x3a95, v6
	v_add_f16_e32 v23, v125, v124
	v_mul_f16_e64 v141, 0xbb7b, v137
	v_mul_f16_e64 v142, 0xb3a8, v128
	v_add_f16_e64 v28, v138, v28
	v_fma_f16 v138, 0x388b, v111, v139
	v_mul_f16_e64 v143, 0xbb7b, v7
	v_fma_f16 v144, v23, 0xb5ac, -v141
	v_fma_f16 v146, v3, 0xbbc4, -v142
	v_mul_f16_e64 v147, 0x3770, v130
	v_add_f16_e64 v28, v138, v28
	v_fma_f16 v138, 0xb5ac, v127, v143
	v_add_f16_e64 v24, v144, v24
	v_add_f16_e64 v144, v45, v146
	v_fma_f16 v146, v8, 0x3b15, -v147
	v_mul_f16_e64 v148, 0xb94e, v48
	v_add_f16_e64 v28, v138, v28
	v_mul_f16_e64 v138, 0x3bf1, v0
	v_fma_f16 v27, v118, 0xbbc4, -v27
	v_add_f16_e64 v144, v146, v144
	v_fma_f16 v146, v9, 0xb9fd, -v148
	v_mul_f16_e64 v149, 0x3a95, v123
	v_fma_f16 v150, 0x2fb7, v134, v138
	v_add_f16_e64 v151, v65, v27
	v_fma_f16 v47, v116, 0x3b15, -v47
	v_add_f16_e64 v144, v146, v144
	v_fma_f16 v146, v2, 0x388b, -v149
	v_mul_f16_e64 v179, 0xbb7b, v135
	v_add_f16_e64 v27, v150, v28
	v_add_f16_e64 v28, v47, v151
	v_fma_f16 v47, v120, 0xb9fd, -v140
	v_add_f16_e64 v140, v146, v144
	v_fma_f16 v144, v10, 0xb5ac, -v179
	v_mul_f16_e64 v146, 0x3bf1, v137
	v_fmac_f16_e64 v142, 0xbbc4, v3
	v_add_f16_e32 v28, v47, v28
	v_fma_f16 v47, v111, 0x388b, -v139
	v_add_f16_e64 v139, v144, v140
	v_fma_f16 v140, v23, 0x2fb7, -v146
	v_add_f16_e64 v142, v45, v142
	v_fmac_f16_e64 v147, 0x3b15, v8
	v_fma_f16 v119, v118, 0xb9fd, -v119
	v_add_f16_e32 v47, v47, v28
	v_add_f16_e64 v28, v140, v139
	v_fmac_f16_e64 v148, 0xb9fd, v9
	v_add_f16_e64 v139, v147, v142
	v_add_f16_e32 v119, v65, v119
	v_fma_f16 v115, v116, 0x2fb7, -v115
	v_fmac_f16_e64 v149, 0x388b, v2
	v_fmac_f16_e64 v129, 0xb9fd, v3
	v_add_f16_e64 v139, v148, v139
	v_fma_f16 v117, v120, 0x388b, -v117
	v_add_f16_e32 v115, v115, v119
	v_fmac_f16_e64 v179, 0xb5ac, v10
	v_add_f16_e64 v129, v45, v129
	v_add_f16_e64 v119, v149, v139
	v_fmac_f16_e64 v132, 0x2fb7, v8
	v_add_f16_e32 v115, v117, v115
	v_fma_f16 v50, v111, 0xbbc4, -v50
	v_fmac_f16_e32 v109, 0x388b, v9
	v_add_f16_e64 v117, v179, v119
	v_add_f16_e64 v119, v132, v129
	v_add_f16_e32 v56, v45, v56
	v_add_f16_e32 v50, v50, v115
	v_fma_f16 v115, v127, 0x3b15, -v126
	v_mul_f16_e32 v126, 0xb5ac, v118
	v_add_f16_e32 v109, v109, v119
	v_mul_f16_e32 v119, 0xb9fd, v116
	v_fma_f16 v143, v127, 0xb5ac, -v143
	v_add_f16_e32 v50, v115, v50
	v_fmamk_f16 v115, v11, 0x3b7b, v126
	v_fmac_f16_e64 v133, 0xbbc4, v2
	v_fma_f16 v129, v134, 0xb5ac, -v131
	v_fma_f16 v131, 0xb94e, v4, v119
	v_mul_f16_e64 v132, 0x3b15, v120
	v_add_f16_e32 v115, v65, v115
	v_add_f16_e32 v56, v58, v56
	;; [unrolled: 1-line block ×3, first 2 shown]
	v_add_f16_e64 v47, v143, v47
	v_fma_f16 v138, v134, 0x2fb7, -v138
	v_add_f16_e64 v109, v133, v109
	v_fmac_f16_e64 v136, 0x3b15, v10
	v_add_f16_e64 v50, v129, v50
	v_mul_f16_e64 v129, 0xbb7b, v128
	v_add_f16_e64 v115, v131, v115
	v_fma_f16 v131, 0xb770, v5, v132
	v_mul_f16_e64 v133, 0x2fb7, v111
	v_mul_f16_e64 v58, 0xb770, v128
	v_add_f16_e32 v56, v59, v56
	v_add_f16_e32 v57, v61, v57
	v_add_f16_e64 v47, v138, v47
	v_add_f16_e64 v109, v136, v109
	v_fma_f16 v136, 0xb5ac, v3, v129
	v_mul_f16_e64 v138, 0x394e, v130
	v_add_f16_e64 v115, v131, v115
	v_fma_f16 v131, 0x3bf1, v6, v133
	v_mul_f16_e64 v139, 0xbbc4, v127
	v_fmamk_f16 v59, v3, 0x3b15, v58
	v_mul_f16_e64 v61, 0xba95, v130
	v_add_f16_e32 v56, v63, v56
	v_add_f16_e32 v57, v62, v57
	v_fmac_f16_e64 v141, 0xb5ac, v23
	v_add_f16_e64 v136, v45, v136
	v_fma_f16 v140, 0xb9fd, v8, v138
	v_mul_f16_e64 v142, 0x3770, v48
	v_add_f16_e64 v115, v131, v115
	v_fma_f16 v131, 0xb3a8, v7, v139
	v_mul_f16_e64 v184, 0x3b7b, v48
	v_mul_f16_e64 v197, 0xb3a8, v48
	v_add_f16_e32 v59, v45, v59
	v_fmamk_f16 v62, v8, 0x388b, v61
	v_mul_f16_e32 v48, 0xbbf1, v48
	v_add_f16_e32 v56, v113, v56
	v_add_f16_e32 v57, v114, v57
	v_fmac_f16_e64 v146, 0x2fb7, v23
	v_add_f16_e64 v109, v141, v109
	v_add_f16_e64 v136, v140, v136
	v_fma_f16 v140, 0x3b15, v9, v142
	v_mul_f16_e64 v141, 0xbbf1, v123
	v_add_f16_e64 v115, v131, v115
	v_mul_f16_e64 v131, 0x388b, v134
	v_mul_f16_e64 v143, 0x2fb7, v118
	v_add_f16_e32 v59, v62, v59
	v_fmamk_f16 v62, v9, 0x2fb7, v48
	v_add_f16_e32 v56, v124, v56
	v_add_f16_e32 v57, v121, v57
	v_mul_f16_e32 v113, 0xbb7b, v123
	v_add_f16_e64 v117, v146, v117
	v_add_f16_e64 v136, v140, v136
	v_fma_f16 v140, 0x2fb7, v2, v141
	v_mul_f16_e64 v144, 0x33a8, v135
	v_fma_f16 v146, 0xba95, v0, v131
	v_fma_f16 v147, 0x3bf1, v11, v143
	v_mul_f16_e64 v148, 0xbbc4, v116
	v_add_f16_e32 v59, v62, v59
	v_add_f16_e32 v56, v125, v56
	;; [unrolled: 1-line block ×3, first 2 shown]
	v_fmamk_f16 v62, v2, 0xb5ac, v113
	v_mul_f16_e64 v121, 0xb94e, v135
	v_add_f16_e64 v136, v140, v136
	v_fma_f16 v140, 0xbbc4, v10, v144
	v_add_f16_e64 v115, v146, v115
	v_add_f16_e64 v146, v65, v147
	v_fma_f16 v147, 0x33a8, v4, v148
	v_mul_f16_e64 v149, 0xb5ac, v120
	v_mul_f16_e64 v150, 0xbbf1, v128
	v_add_f16_e32 v56, v64, v56
	v_add_f16_e32 v57, v110, v57
	;; [unrolled: 1-line block ×3, first 2 shown]
	v_fmamk_f16 v62, v10, 0xb9fd, v121
	v_mul_f16_e64 v64, 0xb3a8, v137
	v_add_f16_e64 v136, v140, v136
	v_mul_f16_e64 v140, 0x3a95, v137
	v_add_f16_e64 v146, v147, v146
	v_fma_f16 v147, 0xbb7b, v5, v149
	v_mul_f16_e64 v151, 0x3b15, v111
	v_fma_f16 v180, 0x2fb7, v3, v150
	v_mul_f16_e64 v181, 0xb3a8, v130
	v_add_f16_e32 v56, v60, v56
	v_add_f16_e32 v57, v112, v57
	v_fmac_f16_e32 v126, 0xbb7b, v11
	v_add_f16_e32 v59, v62, v59
	v_fmamk_f16 v60, v23, 0xbbc4, v64
	v_fma_f16 v179, 0x388b, v23, v140
	v_add_f16_e64 v146, v147, v146
	v_fma_f16 v147, 0xb770, v6, v151
	v_mul_f16_e64 v182, 0x388b, v127
	v_add_f16_e64 v180, v45, v180
	v_fma_f16 v183, 0xbbc4, v8, v181
	v_add_f16_e32 v55, v55, v56
	v_add_f16_e32 v49, v49, v57
	;; [unrolled: 1-line block ×3, first 2 shown]
	v_fmac_f16_e32 v119, 0x394e, v4
	v_add_f16_e32 v57, v60, v59
	v_fma_f16 v59, v3, 0xb5ac, -v129
	v_add_f16_e64 v146, v147, v146
	v_fma_f16 v147, 0x3a95, v7, v182
	v_add_f16_e64 v136, v179, v136
	v_add_f16_e64 v179, v183, v180
	v_fma_f16 v180, 0xb5ac, v9, v184
	v_mul_f16_e64 v183, 0x3770, v123
	v_add_f16_e32 v54, v54, v55
	v_add_f16_e32 v49, v52, v49
	;; [unrolled: 1-line block ×3, first 2 shown]
	v_fmac_f16_e64 v132, 0x3770, v5
	v_add_f16_e32 v55, v45, v59
	v_fma_f16 v56, v8, 0xb9fd, -v138
	v_add_f16_e64 v146, v147, v146
	v_mul_f16_e64 v147, 0x388b, v118
	v_add_f16_e64 v179, v180, v179
	v_fma_f16 v180, 0x3b15, v2, v183
	v_mul_f16_e64 v186, 0xba95, v135
	v_add_f16_e32 v53, v53, v54
	v_add_f16_e32 v49, v51, v49
	v_add_f16_e64 v51, v132, v52
	v_fmac_f16_e64 v133, 0xbbf1, v6
	v_add_f16_e32 v52, v56, v55
	v_fma_f16 v54, v9, 0x3b15, -v142
	v_fmac_f16_e64 v143, 0xbbf1, v11
	v_mul_f16_e64 v185, 0xb9fd, v134
	v_fma_f16 v187, 0x3a95, v11, v147
	v_mul_f16_e64 v188, 0xb5ac, v116
	v_add_f16_e64 v179, v180, v179
	v_fma_f16 v180, 0x388b, v10, v186
	v_add_f16_e32 v46, v46, v49
	v_add_f16_e64 v49, v133, v51
	v_add_f16_e32 v51, v54, v52
	v_fma_f16 v52, v2, 0x2fb7, -v141
	v_add_f16_e64 v54, v65, v143
	v_fmac_f16_e64 v148, 0xb3a8, v4
	v_fma_f16 v189, 0x394e, v0, v185
	v_add_f16_e64 v187, v65, v187
	v_fma_f16 v190, 0x3b7b, v4, v188
	v_mul_f16_e64 v191, 0xbbc4, v120
	v_add_f16_e64 v179, v180, v179
	v_mul_f16_e64 v180, 0xba95, v128
	v_add_f16_e32 v51, v52, v51
	v_fma_f16 v52, v10, 0xbbc4, -v144
	v_add_f16_e64 v54, v148, v54
	v_fmac_f16_e64 v149, 0x3b7b, v5
	v_fma_f16 v55, v3, 0x2fb7, -v150
	v_add_f16_e64 v146, v189, v146
	v_add_f16_e64 v187, v190, v187
	v_fma_f16 v189, 0x33a8, v5, v191
	v_mul_f16_e64 v190, 0xb9fd, v111
	v_fma_f16 v193, 0x388b, v3, v180
	v_mul_f16_e64 v194, 0xbb7b, v130
	v_add_f16_e32 v51, v52, v51
	v_fma_f16 v52, v23, 0x388b, -v140
	v_add_f16_e64 v54, v149, v54
	v_fmac_f16_e64 v151, 0x3770, v6
	v_add_f16_e32 v55, v45, v55
	v_fma_f16 v56, v8, 0xbbc4, -v181
	v_fmac_f16_e64 v147, 0xba95, v11
	v_add_f16_e64 v187, v189, v187
	v_fma_f16 v189, 0xb94e, v6, v190
	v_mul_f16_e64 v195, 0x2fb7, v127
	v_add_f16_e64 v193, v45, v193
	v_fma_f16 v196, 0xb5ac, v8, v194
	v_add_f16_e32 v51, v52, v51
	v_add_f16_e64 v52, v151, v54
	v_add_f16_e32 v54, v56, v55
	v_fma_f16 v55, v9, 0xb5ac, -v184
	v_add_f16_e64 v56, v65, v147
	v_fmac_f16_e64 v188, 0xbb7b, v4
	v_add_f16_e64 v187, v189, v187
	v_fma_f16 v189, 0xbbf1, v7, v195
	v_add_f16_e64 v193, v196, v193
	v_fma_f16 v196, 0xbbc4, v9, v197
	v_mul_f16_e64 v199, 0x394e, v123
	v_mul_f16_e32 v118, 0x3b15, v118
	v_add_f16_e32 v54, v55, v54
	v_fma_f16 v55, v2, 0x3b15, -v183
	v_add_f16_e64 v56, v188, v56
	v_fmac_f16_e64 v191, 0xb3a8, v5
	v_add_f16_e64 v187, v189, v187
	v_add_f16_e64 v189, v196, v193
	v_fma_f16 v193, 0xb9fd, v2, v199
	v_mul_f16_e64 v196, 0x3bf1, v135
	v_fma_f16 v200, 0x3770, v11, v118
	v_mul_f16_e32 v116, 0x388b, v116
	v_fma_f16 v59, v3, 0x388b, -v180
	v_mul_f16_e64 v192, 0xb94e, v137
	v_add_f16_e32 v54, v55, v54
	v_fma_f16 v55, v10, 0x388b, -v186
	v_add_f16_e64 v56, v191, v56
	v_fmac_f16_e64 v190, 0x394e, v6
	v_add_f16_e64 v189, v193, v189
	v_fma_f16 v193, 0x2fb7, v10, v196
	v_mul_f16_e64 v201, 0x3770, v137
	v_add_f16_e64 v200, v65, v200
	v_fma_f16 v202, 0x3a95, v4, v116
	v_mul_f16_e32 v120, 0x2fb7, v120
	v_add_f16_e32 v59, v45, v59
	v_fma_f16 v60, v8, 0xb5ac, -v194
	v_add_f16_e32 v54, v55, v54
	v_fma_f16 v55, v23, 0xb9fd, -v192
	v_add_f16_e64 v56, v190, v56
	v_fmac_f16_e64 v195, 0x3bf1, v7
	v_fmac_f16_e32 v118, 0xb770, v11
	v_fma_f16 v3, v3, 0x3b15, -v58
	v_add_f16_e64 v189, v193, v189
	v_fma_f16 v193, 0x3b15, v23, v201
	v_add_f16_e64 v200, v202, v200
	v_fma_f16 v202, 0x3bf1, v5, v120
	v_mul_f16_e32 v111, 0xb5ac, v111
	v_add_f16_e32 v59, v60, v59
	v_fma_f16 v60, v9, 0xbbc4, -v197
	v_add_f16_e32 v11, v55, v54
	v_add_f16_e64 v54, v195, v56
	v_add_f16_e32 v56, v65, v118
	v_fmac_f16_e32 v116, 0xba95, v4
	v_add_f16_e32 v3, v45, v3
	v_fma_f16 v8, v8, 0x388b, -v61
	v_add_f16_e64 v189, v193, v189
	v_add_f16_e64 v193, v202, v200
	v_fma_f16 v200, 0x3b7b, v6, v111
	v_mul_f16_e32 v127, 0xb9fd, v127
	v_add_f16_e32 v55, v60, v59
	v_fma_f16 v4, v2, 0xb9fd, -v199
	v_fma_f16 v198, 0xb9fd, v23, v192
	v_add_f16_e32 v45, v116, v56
	v_fmac_f16_e32 v120, 0xbbf1, v5
	v_add_f16_e32 v3, v8, v3
	v_fma_f16 v5, v9, 0x2fb7, -v48
	v_add_f16_e64 v128, v200, v193
	v_fma_f16 v193, 0x394e, v7, v127
	v_mul_f16_e64 v63, 0xbbc4, v134
	v_add_f16_e32 v4, v4, v55
	v_fma_f16 v8, v10, 0x2fb7, -v196
	v_add_f16_e64 v179, v198, v179
	v_mul_f16_e64 v198, 0x3b15, v134
	v_add_f16_e32 v9, v120, v45
	v_fmac_f16_e32 v111, 0xbb7b, v6
	v_add_f16_e32 v3, v5, v3
	v_fma_f16 v2, v2, 0xb5ac, -v113
	v_add_f16_e64 v128, v193, v128
	v_fmamk_f16 v114, v0, 0x33a8, v63
	v_add_f16_e32 v4, v8, v4
	v_mul_u32_u24_e32 v8, 52, v145
	v_fma_f16 v203, 0xb770, v0, v198
	v_fmac_f16_e64 v139, 0x33a8, v7
	v_fmac_f16_e64 v182, 0xba95, v7
	v_add_f16_e32 v5, v111, v9
	v_fmac_f16_e32 v127, 0xb94e, v7
	v_add_f16_e32 v2, v2, v3
	v_fma_f16 v3, v10, 0xb9fd, -v121
	v_add_f16_e64 v114, v114, v128
	v_or_b32_e32 v8, v8, v108
	v_add_f16_e64 v187, v203, v187
	v_add_f16_e64 v49, v139, v49
	v_fmac_f16_e64 v131, 0x3a95, v0
	v_add_f16_e64 v52, v182, v52
	v_fmac_f16_e64 v185, 0xb94e, v0
	v_fmac_f16_e64 v198, 0x3770, v0
	v_fma_f16 v7, v23, 0x3b15, -v201
	v_add_f16_e32 v5, v127, v5
	v_fmac_f16_e32 v63, 0xb3a8, v0
	v_add_f16_e32 v0, v3, v2
	v_fma_f16 v2, v23, 0xbbc4, -v64
	v_lshlrev_b32_e32 v3, 2, v8
	v_pack_b32_f16 v8, v53, v46
	v_pack_b32_f16 v9, v57, v114
	v_add_f16_e64 v49, v131, v49
	v_pack_b32_f16 v10, v189, v187
	v_pack_b32_f16 v23, v179, v146
	v_add_f16_e64 v52, v185, v52
	v_add_f16_e64 v6, v198, v54
	v_add_f16_e32 v4, v7, v4
	v_add_f16_e32 v5, v63, v5
	v_add_f16_e32 v0, v2, v0
	v_pack_b32_f16 v2, v136, v115
	v_pack_b32_f16 v7, v109, v50
	ds_store_2addr_b32 v3, v8, v9 offset1:4
	ds_store_2addr_b32 v3, v10, v23 offset0:8 offset1:12
	v_pack_b32_f16 v8, v117, v47
	v_pack_b32_f16 v9, v28, v27
	;; [unrolled: 1-line block ×7, first 2 shown]
	ds_store_2addr_b32 v3, v2, v7 offset0:16 offset1:20
	ds_store_2addr_b32 v3, v8, v9 offset0:24 offset1:28
	;; [unrolled: 1-line block ×4, first 2 shown]
	ds_store_b32 v3, v0 offset:192
.LBB0_29:
	s_wait_alu 0xfffe
	s_or_b32 exec_lo, exec_lo, s1
	v_add_nc_u32_e32 v1, 0x400, v66
	global_wb scope:SCOPE_SE
	s_wait_dscnt 0x0
	s_barrier_signal -1
	s_barrier_wait -1
	global_inv scope:SCOPE_SE
	ds_load_2addr_b32 v[5:6], v66 offset1:52
	ds_load_2addr_b32 v[7:8], v66 offset0:104 offset1:156
	ds_load_2addr_b32 v[9:10], v1 offset0:56 offset1:108
	;; [unrolled: 1-line block ×3, first 2 shown]
	v_add_nc_u32_e32 v4, 0x800, v66
	v_add_nc_u32_e32 v2, 0xa00, v66
	v_add_nc_u32_e32 v0, 0xc00, v66
	v_add_nc_u32_e32 v3, 0x200, v66
	ds_load_2addr_b32 v[27:28], v4 offset0:112 offset1:164
	ds_load_2addr_b32 v[45:46], v2 offset0:88 offset1:140
	;; [unrolled: 1-line block ×6, first 2 shown]
	ds_load_b32 v11, v66 offset:4160
	global_wb scope:SCOPE_SE
	s_wait_dscnt 0x0
	s_barrier_signal -1
	s_barrier_wait -1
	global_inv scope:SCOPE_SE
	s_mov_b32 s10, 0x1e01e01e
	s_mov_b32 s11, 0x3f4e01e0
	v_lshrrev_b32_e32 v55, 16, v5
	v_lshrrev_b32_e32 v56, 16, v8
	;; [unrolled: 1-line block ×6, first 2 shown]
	v_mul_f16_e64 v114, v155, v56
	v_lshrrev_b32_e32 v61, 16, v47
	v_mul_f16_e64 v119, v154, v57
	v_mul_f16_e64 v120, v154, v9
	;; [unrolled: 1-line block ×3, first 2 shown]
	v_fmac_f16_e32 v114, v12, v8
	v_mul_f16_e64 v8, v155, v8
	v_mul_f16_e64 v122, v156, v24
	v_lshrrev_b32_e32 v63, 16, v49
	v_lshrrev_b32_e32 v64, 16, v10
	v_fmac_f16_e32 v119, v13, v9
	v_fma_f16 v8, v12, v56, -v8
	v_fma_f16 v9, v13, v57, -v120
	v_fmac_f16_e32 v121, v14, v24
	v_fma_f16 v24, v14, v58, -v122
	v_mul_f16_e64 v56, v157, v59
	v_mul_f16_e64 v57, v157, v27
	;; [unrolled: 1-line block ×5, first 2 shown]
	v_lshrrev_b32_e32 v65, 16, v51
	v_lshrrev_b32_e32 v108, 16, v28
	v_lshrrev_b32_e32 v109, 16, v53
	v_fmac_f16_e32 v56, v15, v27
	v_fma_f16 v27, v15, v59, -v57
	v_fmac_f16_e32 v58, v25, v46
	v_fma_f16 v46, v25, v60, -v120
	v_fmac_f16_e32 v122, v26, v47
	v_mul_f16_e64 v47, v152, v47
	v_mul_f16_e64 v57, v155, v63
	;; [unrolled: 1-line block ×5, first 2 shown]
	v_lshrrev_b32_e32 v110, 16, v48
	v_lshrrev_b32_e32 v112, 16, v50
	v_fma_f16 v47, v26, v61, -v47
	v_fmac_f16_e32 v57, v12, v49
	v_fma_f16 v12, v12, v63, -v59
	v_fmac_f16_e32 v60, v13, v10
	v_fma_f16 v10, v13, v64, -v120
	v_mul_f16_e64 v13, v156, v65
	v_mul_f16_e64 v49, v156, v51
	;; [unrolled: 1-line block ×5, first 2 shown]
	v_lshrrev_b32_e32 v113, 16, v23
	v_lshrrev_b32_e32 v115, 16, v52
	;; [unrolled: 1-line block ×3, first 2 shown]
	v_fmac_f16_e32 v13, v14, v51
	v_fma_f16 v14, v14, v65, -v49
	v_fmac_f16_e32 v59, v15, v28
	v_fma_f16 v15, v15, v108, -v61
	v_fmac_f16_e32 v63, v25, v53
	v_mul_f16_e64 v28, v153, v53
	v_mul_f16_e64 v49, v152, v110
	v_mul_f16_e64 v51, v152, v48
	v_mul_f16_e64 v53, v164, v112
	v_mul_f16_e64 v61, v164, v50
	v_lshrrev_b32_e32 v117, 16, v54
	v_lshrrev_b32_e32 v118, 16, v11
	v_fma_f16 v25, v25, v109, -v28
	v_fmac_f16_e32 v49, v26, v48
	v_fma_f16 v26, v26, v110, -v51
	v_fmac_f16_e32 v53, v16, v50
	v_fma_f16 v16, v16, v112, -v61
	v_mul_f16_e64 v28, v162, v113
	v_mul_f16_e64 v48, v162, v23
	;; [unrolled: 1-line block ×5, first 2 shown]
	v_fmac_f16_e32 v28, v17, v23
	v_fma_f16 v17, v17, v113, -v48
	v_fmac_f16_e32 v50, v18, v52
	v_fma_f16 v18, v18, v115, -v51
	v_fmac_f16_e32 v61, v19, v45
	v_mul_f16_e64 v23, v159, v45
	v_mul_f16_e64 v45, v160, v117
	;; [unrolled: 1-line block ×5, first 2 shown]
	v_fma_f16 v19, v19, v116, -v23
	v_fmac_f16_e32 v45, v29, v54
	v_fma_f16 v23, v29, v117, -v48
	v_fmac_f16_e32 v51, v30, v11
	v_fma_f16 v11, v30, v118, -v52
	v_add_f16_e32 v29, v114, v122
	v_add_f16_e32 v30, v8, v47
	v_sub_f16_e32 v8, v8, v47
	v_add_f16_e32 v47, v119, v58
	v_add_f16_e32 v52, v9, v46
	v_sub_f16_e32 v48, v114, v122
	v_sub_f16_e32 v54, v119, v58
	;; [unrolled: 1-line block ×3, first 2 shown]
	v_add_f16_e32 v46, v121, v56
	v_add_f16_e32 v58, v24, v27
	v_sub_f16_e32 v56, v56, v121
	v_sub_f16_e32 v24, v27, v24
	v_add_f16_e32 v27, v47, v29
	v_add_f16_e32 v64, v52, v30
	v_sub_f16_e32 v65, v47, v29
	v_sub_f16_e32 v108, v52, v30
	v_sub_f16_e32 v29, v29, v46
	v_sub_f16_e32 v30, v30, v58
	v_sub_f16_e32 v47, v46, v47
	v_sub_f16_e32 v52, v58, v52
	v_add_f16_e32 v109, v56, v54
	v_add_f16_e32 v110, v24, v9
	v_sub_f16_e32 v112, v56, v54
	v_sub_f16_e32 v113, v24, v9
	;; [unrolled: 1-line block ×3, first 2 shown]
	v_add_f16_e32 v27, v46, v27
	v_add_f16_e32 v46, v58, v64
	v_sub_f16_e32 v9, v9, v8
	v_sub_f16_e32 v56, v48, v56
	;; [unrolled: 1-line block ×3, first 2 shown]
	v_add_f16_e32 v48, v109, v48
	v_add_f16_e32 v8, v110, v8
	;; [unrolled: 1-line block ×4, first 2 shown]
	v_mul_f16_e32 v29, 0x3a52, v29
	v_mul_f16_e32 v30, 0x3a52, v30
	;; [unrolled: 1-line block ×8, first 2 shown]
	v_fmamk_f16 v27, v27, 0xbcab, v5
	v_fmamk_f16 v46, v46, 0xbcab, v55
	;; [unrolled: 1-line block ×4, first 2 shown]
	v_fma_f16 v58, v65, 0x39e0, -v58
	v_fma_f16 v64, v108, 0x39e0, -v64
	;; [unrolled: 1-line block ×4, first 2 shown]
	v_fmamk_f16 v65, v56, 0xb574, v109
	v_fmamk_f16 v108, v24, 0xb574, v110
	v_fma_f16 v56, v56, 0x3574, -v112
	v_fma_f16 v24, v24, 0x3574, -v113
	;; [unrolled: 1-line block ×4, first 2 shown]
	v_add_f16_e32 v47, v47, v27
	v_add_f16_e32 v52, v52, v46
	v_add_f16_e32 v58, v58, v27
	v_add_f16_e32 v27, v29, v27
	v_add_f16_e32 v29, v30, v46
	v_fmac_f16_e32 v65, 0xb70e, v48
	v_fmac_f16_e32 v108, 0xb70e, v8
	v_fmac_f16_e32 v24, 0xb70e, v8
	v_fmac_f16_e32 v56, 0xb70e, v48
	v_add_f16_e32 v64, v64, v46
	v_fmac_f16_e32 v54, 0xb70e, v48
	v_fmac_f16_e32 v9, 0xb70e, v8
	v_add_f16_e32 v8, v108, v47
	v_sub_f16_e32 v30, v52, v65
	v_add_f16_e32 v46, v24, v27
	v_sub_f16_e32 v48, v29, v56
	v_sub_f16_e32 v24, v27, v24
	v_add_f16_e32 v27, v56, v29
	v_sub_f16_e32 v29, v47, v108
	v_add_f16_e32 v47, v65, v52
	v_add_f16_e32 v52, v57, v49
	;; [unrolled: 1-line block ×3, first 2 shown]
	v_sub_f16_e32 v49, v57, v49
	v_sub_f16_e32 v12, v12, v26
	v_add_f16_e32 v26, v60, v63
	v_add_f16_e32 v57, v10, v25
	v_sub_f16_e32 v109, v58, v9
	v_add_f16_e32 v9, v9, v58
	v_sub_f16_e32 v58, v60, v63
	v_sub_f16_e32 v10, v10, v25
	v_add_f16_e32 v25, v13, v59
	v_add_f16_e32 v60, v14, v15
	v_sub_f16_e32 v13, v59, v13
	v_sub_f16_e32 v14, v15, v14
	v_add_f16_e32 v15, v26, v52
	v_add_f16_e32 v59, v57, v56
	v_lshrrev_b32_e32 v62, 16, v6
	v_add_f16_e32 v110, v54, v64
	v_sub_f16_e32 v54, v64, v54
	v_sub_f16_e32 v63, v26, v52
	;; [unrolled: 1-line block ×7, first 2 shown]
	v_add_f16_e32 v65, v13, v58
	v_add_f16_e32 v108, v14, v10
	v_sub_f16_e32 v112, v13, v58
	v_sub_f16_e32 v113, v14, v10
	;; [unrolled: 1-line block ×3, first 2 shown]
	v_add_f16_e32 v15, v25, v15
	v_add_f16_e32 v25, v60, v59
	v_sub_f16_e32 v10, v10, v12
	v_sub_f16_e32 v13, v49, v13
	v_sub_f16_e32 v14, v12, v14
	v_add_f16_e32 v49, v65, v49
	v_add_f16_e32 v12, v108, v12
	;; [unrolled: 1-line block ×4, first 2 shown]
	v_mul_f16_e32 v52, 0x3a52, v52
	v_mul_f16_e32 v56, 0x3a52, v56
	;; [unrolled: 1-line block ×8, first 2 shown]
	v_fmamk_f16 v15, v15, 0xbcab, v6
	v_fmamk_f16 v25, v25, 0xbcab, v59
	;; [unrolled: 1-line block ×4, first 2 shown]
	v_fma_f16 v60, v63, 0x39e0, -v60
	v_fma_f16 v62, v64, 0x39e0, -v62
	v_fma_f16 v52, v63, 0xb9e0, -v52
	v_fma_f16 v56, v64, 0xb9e0, -v56
	v_fmamk_f16 v63, v13, 0xb574, v65
	v_fmamk_f16 v64, v14, 0xb574, v108
	v_fma_f16 v13, v13, 0x3574, -v112
	v_fma_f16 v14, v14, 0x3574, -v113
	;; [unrolled: 1-line block ×4, first 2 shown]
	v_add_f16_e32 v26, v26, v15
	v_add_f16_e32 v57, v57, v25
	;; [unrolled: 1-line block ×6, first 2 shown]
	v_fmac_f16_e32 v63, 0xb70e, v49
	v_fmac_f16_e32 v64, 0xb70e, v12
	;; [unrolled: 1-line block ×6, first 2 shown]
	v_add_f16_e32 v12, v64, v26
	v_sub_f16_e32 v49, v57, v63
	v_add_f16_e32 v52, v14, v15
	v_sub_f16_e32 v56, v25, v13
	v_sub_f16_e32 v14, v15, v14
	v_add_f16_e32 v13, v13, v25
	v_sub_f16_e32 v15, v26, v64
	v_add_f16_e32 v25, v63, v57
	v_add_f16_e32 v26, v53, v51
	;; [unrolled: 1-line block ×3, first 2 shown]
	v_sub_f16_e32 v51, v53, v51
	v_sub_f16_e32 v11, v16, v11
	v_add_f16_e32 v16, v28, v45
	v_add_f16_e32 v53, v17, v23
	v_sub_f16_e32 v65, v60, v10
	v_add_f16_e32 v10, v10, v60
	v_sub_f16_e32 v28, v28, v45
	v_sub_f16_e32 v17, v17, v23
	v_add_f16_e32 v23, v50, v61
	v_add_f16_e32 v45, v18, v19
	v_sub_f16_e32 v50, v61, v50
	v_sub_f16_e32 v18, v19, v18
	v_add_f16_e32 v19, v16, v26
	v_add_f16_e32 v60, v53, v57
	v_lshrrev_b32_e32 v111, 16, v7
	v_add_f16_e32 v108, v58, v62
	v_sub_f16_e32 v58, v62, v58
	v_sub_f16_e32 v61, v16, v26
	;; [unrolled: 1-line block ×7, first 2 shown]
	v_add_f16_e32 v63, v50, v28
	v_add_f16_e32 v64, v18, v17
	v_sub_f16_e32 v112, v50, v28
	v_sub_f16_e32 v113, v18, v17
	v_add_f16_e32 v19, v23, v19
	v_add_f16_e32 v23, v45, v60
	v_sub_f16_e32 v28, v28, v51
	v_sub_f16_e32 v17, v17, v11
	;; [unrolled: 1-line block ×4, first 2 shown]
	v_add_f16_e32 v45, v63, v51
	v_add_f16_e32 v11, v64, v11
	;; [unrolled: 1-line block ×4, first 2 shown]
	v_mul_f16_e32 v26, 0x3a52, v26
	v_mul_f16_e32 v57, 0x3a52, v57
	;; [unrolled: 1-line block ×8, first 2 shown]
	v_fmamk_f16 v19, v19, 0xbcab, v7
	v_fmamk_f16 v23, v23, 0xbcab, v51
	;; [unrolled: 1-line block ×4, first 2 shown]
	v_fma_f16 v60, v61, 0x39e0, -v60
	v_fma_f16 v63, v62, 0x39e0, -v63
	;; [unrolled: 1-line block ×4, first 2 shown]
	v_fmamk_f16 v61, v50, 0xb574, v64
	v_fmamk_f16 v62, v18, 0xb574, v111
	v_fma_f16 v28, v28, 0xbb00, -v64
	v_fma_f16 v17, v17, 0xbb00, -v111
	;; [unrolled: 1-line block ×4, first 2 shown]
	v_pack_b32_f16 v5, v5, v55
	v_pack_b32_f16 v8, v8, v30
	v_add_f16_e32 v16, v16, v19
	v_add_f16_e32 v53, v53, v23
	v_fmac_f16_e32 v61, 0xb70e, v45
	v_fmac_f16_e32 v62, 0xb70e, v11
	v_add_f16_e32 v60, v60, v19
	v_add_f16_e32 v63, v63, v23
	;; [unrolled: 1-line block ×4, first 2 shown]
	v_fmac_f16_e32 v28, 0xb70e, v45
	v_fmac_f16_e32 v18, 0xb70e, v11
	;; [unrolled: 1-line block ×4, first 2 shown]
	ds_store_2addr_b32 v66, v5, v8 offset1:52
	v_pack_b32_f16 v5, v46, v48
	v_pack_b32_f16 v8, v109, v110
	v_add_f16_e32 v11, v62, v16
	v_sub_f16_e32 v26, v53, v61
	v_pack_b32_f16 v9, v9, v54
	v_pack_b32_f16 v24, v24, v27
	v_add_f16_e32 v45, v18, v19
	v_sub_f16_e32 v57, v23, v50
	v_sub_f16_e32 v64, v60, v17
	v_add_f16_e32 v111, v28, v63
	v_pack_b32_f16 v27, v29, v47
	v_pack_b32_f16 v6, v6, v59
	v_add_f16_e32 v17, v17, v60
	v_sub_f16_e32 v28, v63, v28
	v_sub_f16_e32 v18, v19, v18
	v_add_f16_e32 v19, v50, v23
	v_pack_b32_f16 v12, v12, v49
	v_pack_b32_f16 v29, v52, v56
	v_sub_f16_e32 v16, v16, v62
	v_add_f16_e32 v23, v61, v53
	v_pack_b32_f16 v30, v65, v108
	v_pack_b32_f16 v10, v10, v58
	ds_store_2addr_b32 v66, v5, v8 offset0:104 offset1:156
	ds_store_2addr_b32 v3, v9, v24 offset0:80 offset1:132
	;; [unrolled: 1-line block ×5, first 2 shown]
	v_pack_b32_f16 v5, v14, v13
	v_pack_b32_f16 v6, v15, v25
	;; [unrolled: 1-line block ×4, first 2 shown]
	v_add_nc_u32_e32 v9, 0xa00, v158
	v_pack_b32_f16 v10, v45, v57
	v_pack_b32_f16 v11, v64, v111
	v_add_nc_u32_e32 v12, 0xc00, v158
	v_pack_b32_f16 v13, v17, v28
	v_pack_b32_f16 v14, v18, v19
	;; [unrolled: 1-line block ×3, first 2 shown]
	ds_store_2addr_b32 v4, v5, v6 offset0:112 offset1:164
	ds_store_2addr_b32 v9, v7, v8 offset0:88 offset1:140
	;; [unrolled: 1-line block ×4, first 2 shown]
	ds_store_b32 v158, v15 offset:4160
	global_wb scope:SCOPE_SE
	s_wait_dscnt 0x0
	s_barrier_signal -1
	s_barrier_wait -1
	global_inv scope:SCOPE_SE
	ds_load_2addr_b32 v[5:6], v66 offset1:52
	ds_load_2addr_b32 v[7:8], v1 offset0:56 offset1:108
	ds_load_2addr_b32 v[9:10], v2 offset0:88 offset1:140
	;; [unrolled: 1-line block ×9, first 2 shown]
	ds_load_b32 v45, v66 offset:4160
	s_wait_dscnt 0xa
	v_lshrrev_b32_e32 v19, 16, v5
	s_wait_dscnt 0x9
	v_lshrrev_b32_e32 v29, 16, v8
	;; [unrolled: 2-line block ×4, first 2 shown]
	v_lshrrev_b32_e32 v48, 16, v10
	v_mul_f16_e64 v64, v169, v8
	v_mul_f16_e64 v62, v169, v29
	v_lshrrev_b32_e32 v50, 16, v12
	v_mul_f16_e64 v108, v166, v30
	s_wait_dscnt 0x5
	v_lshrrev_b32_e32 v51, 16, v15
	v_fma_f16 v29, v31, v29, -v64
	v_fmac_f16_e32 v62, v31, v8
	v_mul_f16_e64 v8, v166, v9
	v_mul_f16_e64 v31, v167, v47
	s_wait_dscnt 0x4
	v_lshrrev_b32_e32 v53, 16, v17
	v_fmac_f16_e32 v108, v32, v9
	v_mul_f16_e64 v9, v167, v11
	v_fma_f16 v8, v32, v30, -v8
	v_mul_f16_e64 v30, v165, v48
	v_fmac_f16_e32 v31, v39, v11
	v_mul_f16_e64 v11, v165, v10
	v_mul_f16_e64 v32, v171, v50
	v_lshrrev_b32_e32 v54, 16, v16
	v_fmac_f16_e32 v30, v40, v10
	v_mul_f16_e64 v10, v171, v12
	v_fma_f16 v9, v39, v47, -v9
	v_mul_f16_e64 v39, v170, v51
	v_fmac_f16_e32 v32, v37, v12
	v_mul_f16_e64 v12, v170, v15
	v_fma_f16 v10, v37, v50, -v10
	v_mul_f16_e64 v37, v172, v53
	v_lshrrev_b32_e32 v56, 16, v18
	s_wait_dscnt 0x2
	v_lshrrev_b32_e32 v57, 16, v25
	v_fmac_f16_e32 v39, v38, v15
	v_mul_f16_e64 v15, v172, v17
	v_fma_f16 v12, v38, v51, -v12
	v_mul_f16_e64 v38, v168, v54
	v_fmac_f16_e32 v37, v35, v17
	v_mul_f16_e64 v17, v168, v16
	s_wait_dscnt 0x1
	v_lshrrev_b32_e32 v59, 16, v27
	v_lshrrev_b32_e32 v60, 16, v26
	v_fma_f16 v15, v35, v53, -v15
	v_mul_f16_e64 v35, v175, v56
	v_fmac_f16_e32 v38, v36, v16
	v_mul_f16_e64 v16, v175, v18
	v_fma_f16 v17, v36, v54, -v17
	v_mul_f16_e64 v36, v174, v57
	v_lshrrev_b32_e32 v63, 16, v28
	v_fma_f16 v11, v40, v48, -v11
	v_fmac_f16_e32 v35, v43, v18
	v_mul_f16_e64 v18, v174, v25
	v_fma_f16 v16, v43, v56, -v16
	v_mul_f16_e64 v40, v176, v59
	v_fmac_f16_e32 v36, v44, v25
	v_mul_f16_e64 v25, v176, v27
	v_mul_f16_e64 v43, v173, v60
	s_wait_dscnt 0x0
	v_lshrrev_b32_e32 v65, 16, v45
	v_fmac_f16_e32 v40, v41, v27
	v_mul_f16_e64 v27, v173, v26
	v_fma_f16 v25, v41, v59, -v25
	v_mul_f16_e64 v41, v178, v63
	v_fmac_f16_e32 v43, v42, v26
	v_mul_f16_e64 v26, v178, v28
	v_fma_f16 v27, v42, v60, -v27
	v_mul_f16_e64 v42, v177, v65
	v_fmac_f16_e32 v41, v33, v28
	v_mul_f16_e64 v28, v177, v45
	v_fma_f16 v26, v33, v63, -v26
	v_add_f16_e32 v33, v62, v108
	v_fma_f16 v18, v44, v57, -v18
	v_fmac_f16_e32 v42, v34, v45
	v_add_f16_e32 v44, v5, v62
	v_fma_f16 v28, v34, v65, -v28
	v_add_f16_e32 v34, v29, v8
	v_fma_f16 v5, -0.5, v33, v5
	v_sub_f16_e32 v33, v29, v8
	v_add_f16_e32 v29, v19, v29
	v_lshrrev_b32_e32 v46, 16, v6
	v_fmac_f16_e32 v19, -0.5, v34
	v_sub_f16_e32 v34, v62, v108
	v_fmamk_f16 v45, v33, 0xbaee, v5
	v_add_f16_e32 v8, v29, v8
	v_add_f16_e32 v29, v31, v30
	v_fmac_f16_e32 v5, 0x3aee, v33
	v_fmamk_f16 v33, v34, 0x3aee, v19
	v_add_f16_e32 v47, v6, v31
	v_fmac_f16_e32 v19, 0xbaee, v34
	v_add_f16_e32 v34, v9, v11
	v_fmac_f16_e32 v6, -0.5, v29
	v_sub_f16_e32 v29, v9, v11
	v_add_f16_e32 v9, v46, v9
	v_lshrrev_b32_e32 v49, 16, v13
	v_add_f16_e32 v47, v47, v30
	v_fmac_f16_e32 v46, -0.5, v34
	v_sub_f16_e32 v30, v31, v30
	v_add_f16_e32 v9, v9, v11
	v_add_f16_e32 v11, v32, v39
	v_fmamk_f16 v31, v29, 0xbaee, v6
	v_fmac_f16_e32 v6, 0x3aee, v29
	v_fmamk_f16 v29, v30, 0x3aee, v46
	v_add_f16_e32 v34, v13, v32
	v_fmac_f16_e32 v46, 0xbaee, v30
	v_add_f16_e32 v30, v10, v12
	v_fma_f16 v11, -0.5, v11, v13
	v_sub_f16_e32 v13, v10, v12
	v_add_f16_e32 v10, v49, v10
	v_lshrrev_b32_e32 v52, 16, v14
	v_fmac_f16_e32 v49, -0.5, v30
	v_sub_f16_e32 v30, v32, v39
	v_add_f16_e32 v34, v34, v39
	v_add_f16_e32 v10, v10, v12
	;; [unrolled: 1-line block ×3, first 2 shown]
	v_fmamk_f16 v32, v13, 0xbaee, v11
	v_fmac_f16_e32 v11, 0x3aee, v13
	v_fmamk_f16 v13, v30, 0x3aee, v49
	v_add_f16_e32 v39, v14, v37
	v_fmac_f16_e32 v49, 0xbaee, v30
	v_add_f16_e32 v30, v15, v17
	v_fmac_f16_e32 v14, -0.5, v12
	v_sub_f16_e32 v12, v15, v17
	v_add_f16_e32 v15, v52, v15
	v_lshrrev_b32_e32 v55, 16, v23
	v_fmac_f16_e32 v52, -0.5, v30
	v_sub_f16_e32 v30, v37, v38
	v_fmamk_f16 v37, v12, 0xbaee, v14
	v_fmac_f16_e32 v14, 0x3aee, v12
	v_add_f16_e32 v12, v15, v17
	v_add_f16_e32 v15, v35, v36
	;; [unrolled: 1-line block ×3, first 2 shown]
	v_fmamk_f16 v17, v30, 0x3aee, v52
	v_add_f16_e32 v38, v23, v35
	v_fmac_f16_e32 v52, 0xbaee, v30
	v_add_f16_e32 v30, v16, v18
	v_fma_f16 v15, -0.5, v15, v23
	v_sub_f16_e32 v23, v16, v18
	v_add_f16_e32 v16, v55, v16
	v_lshrrev_b32_e32 v58, 16, v24
	v_fmac_f16_e32 v55, -0.5, v30
	v_sub_f16_e32 v30, v35, v36
	v_add_f16_e32 v38, v38, v36
	v_add_f16_e32 v16, v16, v18
	;; [unrolled: 1-line block ×3, first 2 shown]
	v_fmamk_f16 v35, v23, 0xbaee, v15
	v_fmac_f16_e32 v15, 0x3aee, v23
	v_fmamk_f16 v23, v30, 0x3aee, v55
	v_add_f16_e32 v36, v24, v40
	v_fmac_f16_e32 v55, 0xbaee, v30
	v_add_f16_e32 v30, v25, v27
	v_fmac_f16_e32 v24, -0.5, v18
	v_sub_f16_e32 v18, v25, v27
	v_add_f16_e32 v25, v58, v25
	v_lshrrev_b32_e32 v61, 16, v7
	v_fmac_f16_e32 v58, -0.5, v30
	v_sub_f16_e32 v30, v40, v43
	v_fmamk_f16 v40, v18, 0xbaee, v24
	v_fmac_f16_e32 v24, 0x3aee, v18
	v_add_f16_e32 v18, v25, v27
	v_add_f16_e32 v25, v41, v42
	;; [unrolled: 1-line block ×3, first 2 shown]
	v_fmamk_f16 v27, v30, 0x3aee, v58
	v_fmac_f16_e32 v58, 0xbaee, v30
	v_add_f16_e32 v30, v26, v28
	v_add_f16_e32 v43, v7, v41
	v_fmac_f16_e32 v7, -0.5, v25
	v_sub_f16_e32 v25, v26, v28
	v_add_f16_e32 v26, v61, v26
	v_add_f16_e32 v44, v44, v108
	v_fmac_f16_e32 v61, -0.5, v30
	v_sub_f16_e32 v30, v41, v42
	v_add_f16_e32 v41, v43, v42
	v_fmamk_f16 v42, v25, 0xbaee, v7
	v_fmac_f16_e32 v7, 0x3aee, v25
	v_add_f16_e32 v25, v26, v28
	v_pack_b32_f16 v28, v45, v33
	v_pack_b32_f16 v5, v5, v19
	;; [unrolled: 1-line block ×6, first 2 shown]
	ds_store_b32 v66, v28 offset:1456
	ds_store_b32 v66, v5 offset:2912
	ds_store_2addr_b32 v66, v8, v9 offset1:52
	v_pack_b32_f16 v5, v6, v46
	v_pack_b32_f16 v8, v11, v49
	v_pack_b32_f16 v6, v34, v10
	v_pack_b32_f16 v9, v39, v12
	v_fmamk_f16 v26, v30, 0x3aee, v61
	v_pack_b32_f16 v10, v14, v52
	v_pack_b32_f16 v11, v37, v17
	;; [unrolled: 1-line block ×3, first 2 shown]
	v_fmac_f16_e32 v61, 0xbaee, v30
	ds_store_2addr_b32 v1, v19, v13 offset0:160 offset1:212
	ds_store_2addr_b32 v0, v5, v8 offset0:12 offset1:64
	;; [unrolled: 1-line block ×3, first 2 shown]
	ds_store_b32 v66, v10 offset:3536
	v_pack_b32_f16 v5, v38, v16
	v_pack_b32_f16 v8, v36, v18
	;; [unrolled: 1-line block ×4, first 2 shown]
	ds_store_2addr_b32 v4, v11, v12 offset0:8 offset1:60
	v_pack_b32_f16 v9, v40, v27
	v_pack_b32_f16 v11, v42, v26
	;; [unrolled: 1-line block ×4, first 2 shown]
	ds_store_2addr_b32 v3, v5, v8 offset0:80 offset1:132
	ds_store_2addr_b32 v0, v6, v10 offset0:168 offset1:220
	;; [unrolled: 1-line block ×3, first 2 shown]
	ds_store_b32 v66, v12 offset:1248
	ds_store_b32 v66, v7 offset:4160
	global_wb scope:SCOPE_SE
	s_wait_dscnt 0x0
	s_barrier_signal -1
	s_barrier_wait -1
	global_inv scope:SCOPE_SE
	ds_load_2addr_b32 v[5:6], v66 offset1:52
	ds_load_2addr_b32 v[11:12], v4 offset0:34 offset1:86
	s_wait_dscnt 0x1
	v_lshrrev_b32_e32 v9, 16, v5
	s_delay_alu instid0(VALU_DEP_1) | instskip(NEXT) | instid1(VALU_DEP_1)
	v_mul_f16_e32 v7, v107, v9
	v_fmac_f16_e32 v7, v105, v5
	v_mul_f16_e32 v5, v107, v5
	s_delay_alu instid0(VALU_DEP_2) | instskip(NEXT) | instid1(VALU_DEP_2)
	v_cvt_f32_f16_e32 v7, v7
	v_fma_f16 v5, v105, v9, -v5
	s_delay_alu instid0(VALU_DEP_2) | instskip(NEXT) | instid1(VALU_DEP_2)
	v_cvt_f64_f32_e32 v[7:8], v7
	v_cvt_f32_f16_e32 v5, v5
	s_delay_alu instid0(VALU_DEP_1) | instskip(SKIP_2) | instid1(VALU_DEP_1)
	v_cvt_f64_f32_e32 v[9:10], v5
	s_wait_dscnt 0x0
	v_lshrrev_b32_e32 v5, 16, v11
	v_mul_f16_e32 v13, v106, v5
	s_delay_alu instid0(VALU_DEP_1) | instskip(SKIP_1) | instid1(VALU_DEP_2)
	v_fmac_f16_e32 v13, v104, v11
	v_mul_f16_e32 v11, v106, v11
	v_cvt_f32_f16_e32 v13, v13
	s_delay_alu instid0(VALU_DEP_2) | instskip(NEXT) | instid1(VALU_DEP_1)
	v_fma_f16 v5, v104, v5, -v11
	v_cvt_f32_f16_e32 v5, v5
	s_wait_alu 0xfffe
	v_mul_f64_e32 v[7:8], s[10:11], v[7:8]
	v_mul_f64_e32 v[9:10], s[10:11], v[9:10]
	s_delay_alu instid0(VALU_DEP_2) | instskip(SKIP_2) | instid1(VALU_DEP_3)
	v_and_or_b32 v7, 0x1ff, v8, v7
	v_lshrrev_b32_e32 v14, 8, v8
	v_bfe_u32 v15, v8, 20, 11
	v_cmp_ne_u32_e64 s0, 0, v7
	v_and_or_b32 v9, 0x1ff, v10, v9
	v_lshrrev_b32_e32 v19, 8, v10
	v_bfe_u32 v23, v10, 20, 11
	v_add_nc_u32_e32 v24, 0xfffffc10, v15
	s_wait_alu 0xf1ff
	v_cndmask_b32_e64 v7, 0, 1, s0
	v_cmp_ne_u32_e64 s0, 0, v9
	v_lshrrev_b32_e32 v10, 16, v10
	s_delay_alu instid0(VALU_DEP_3) | instskip(SKIP_3) | instid1(VALU_DEP_3)
	v_and_or_b32 v7, 0xffe, v14, v7
	v_sub_nc_u32_e32 v14, 0x3f1, v15
	s_wait_alu 0xf1ff
	v_cndmask_b32_e64 v9, 0, 1, s0
	v_or_b32_e32 v16, 0x1000, v7
	s_delay_alu instid0(VALU_DEP_3) | instskip(SKIP_1) | instid1(VALU_DEP_4)
	v_med3_i32 v17, v14, 0, 13
	v_cvt_f64_f32_e32 v[13:14], v13
	v_and_or_b32 v9, 0xffe, v19, v9
	v_sub_nc_u32_e32 v19, 0x3f1, v23
	v_add_nc_u32_e32 v23, 0xfffffc10, v23
	v_lshrrev_b32_e32 v18, v17, v16
	s_delay_alu instid0(VALU_DEP_4) | instskip(NEXT) | instid1(VALU_DEP_3)
	v_or_b32_e32 v25, 0x1000, v9
	v_cmp_gt_i32_e64 s2, 1, v23
	s_delay_alu instid0(VALU_DEP_3) | instskip(NEXT) | instid1(VALU_DEP_1)
	v_lshlrev_b32_e32 v17, v17, v18
	v_cmp_ne_u32_e64 s0, v17, v16
	v_med3_i32 v17, v19, 0, 13
	v_cvt_f64_f32_e32 v[15:16], v5
	s_wait_alu 0xf1ff
	s_delay_alu instid0(VALU_DEP_3) | instskip(NEXT) | instid1(VALU_DEP_3)
	v_cndmask_b32_e64 v11, 0, 1, s0
	v_lshrrev_b32_e32 v19, v17, v25
	v_cmp_gt_i32_e64 s0, 1, v24
	s_delay_alu instid0(VALU_DEP_3) | instskip(SKIP_1) | instid1(VALU_DEP_4)
	v_or_b32_e32 v11, v18, v11
	v_lshl_or_b32 v18, v24, 12, v7
	v_lshlrev_b32_e32 v5, v17, v19
	s_wait_alu 0xf1ff
	s_delay_alu instid0(VALU_DEP_2) | instskip(NEXT) | instid1(VALU_DEP_2)
	v_cndmask_b32_e64 v11, v18, v11, s0
	v_cmp_ne_u32_e64 s0, v5, v25
	v_lshl_or_b32 v25, v23, 12, v9
	v_mad_co_u64_u32 v[17:18], null, s6, v22, 0
	s_delay_alu instid0(VALU_DEP_4)
	v_and_b32_e32 v26, 7, v11
	s_wait_alu 0xf1ff
	v_cndmask_b32_e64 v5, 0, 1, s0
	v_lshrrev_b32_e32 v11, 2, v11
	v_mul_f64_e32 v[13:14], s[10:11], v[13:14]
	v_cmp_lt_i32_e64 s0, 5, v26
	v_cmp_eq_u32_e64 s1, 3, v26
	v_or_b32_e32 v19, v19, v5
	v_mov_b32_e32 v5, v18
	s_delay_alu instid0(VALU_DEP_3) | instskip(NEXT) | instid1(VALU_DEP_2)
	s_or_b32 s0, s1, s0
	v_cndmask_b32_e64 v25, v25, v19, s2
	s_wait_alu 0xfffe
	v_add_co_ci_u32_e64 v11, s0, 0, v11, s0
	v_cmp_ne_u32_e64 s0, 0, v7
	v_mad_co_u64_u32 v[18:19], null, s7, v22, v[5:6]
	v_and_b32_e32 v26, 7, v25
	v_mul_f64_e32 v[15:16], s[10:11], v[15:16]
	s_wait_alu 0xf1ff
	v_cndmask_b32_e64 v7, 0, 1, s0
	v_cmp_gt_i32_e64 s0, 31, v24
	v_cmp_eq_u32_e64 s2, 0x40f, v24
	v_cmp_eq_u32_e64 s1, 3, v26
	v_lshrrev_b32_e32 v24, 16, v8
	v_lshl_or_b32 v7, v7, 9, 0x7c00
	s_wait_alu 0xf1ff
	v_cndmask_b32_e64 v5, 0x7c00, v11, s0
	v_cmp_lt_i32_e64 s0, 5, v26
	v_lshrrev_b32_e32 v11, 2, v25
	s_delay_alu instid0(VALU_DEP_3) | instskip(NEXT) | instid1(VALU_DEP_3)
	v_cndmask_b32_e64 v19, v5, v7, s2
	s_or_b32 s0, s1, s0
	s_wait_alu 0xfffe
	s_delay_alu instid0(VALU_DEP_2) | instskip(SKIP_4) | instid1(VALU_DEP_3)
	v_add_co_ci_u32_e64 v5, s0, 0, v11, s0
	v_cmp_ne_u32_e64 s0, 0, v9
	v_lshrrev_b32_e32 v11, 16, v6
	v_and_or_b32 v19, 0x8000, v24, v19
	s_wait_alu 0xf1ff
	v_cndmask_b32_e64 v7, 0, 1, s0
	v_cmp_gt_i32_e64 s0, 31, v23
	v_and_or_b32 v13, 0x1ff, v14, v13
	v_mul_f16_e32 v9, v103, v11
	v_lshrrev_b32_e32 v25, 8, v14
	v_lshl_or_b32 v22, v7, 9, 0x7c00
	s_wait_alu 0xf1ff
	v_cndmask_b32_e64 v5, 0x7c00, v5, s0
	v_cmp_ne_u32_e64 s0, 0, v13
	v_fmac_f16_e32 v9, v101, v6
	v_mad_co_u64_u32 v[7:8], null, s4, v99, 0
	v_bfe_u32 v26, v14, 20, 11
	s_wait_alu 0xf1ff
	v_cndmask_b32_e64 v13, 0, 1, s0
	v_cmp_eq_u32_e64 s0, 0x40f, v23
	v_cvt_f32_f16_e32 v9, v9
	v_and_b32_e32 v19, 0xffff, v19
	v_and_or_b32 v15, 0x1ff, v16, v15
	v_and_or_b32 v13, 0xffe, v25, v13
	s_wait_alu 0xf1ff
	v_cndmask_b32_e64 v27, v5, v22, s0
	v_mov_b32_e32 v5, v8
	v_cvt_f64_f32_e32 v[22:23], v9
	v_sub_nc_u32_e32 v25, 0x3f1, v26
	v_cmp_ne_u32_e64 s0, 0, v15
	v_lshrrev_b32_e32 v15, 8, v16
	v_mad_co_u64_u32 v[8:9], null, s5, v99, v[5:6]
	v_or_b32_e32 v5, 0x1000, v13
	v_med3_i32 v9, v25, 0, 13
	v_mul_f16_e32 v6, v103, v6
	v_bfe_u32 v25, v16, 20, 11
	v_add_nc_u32_e32 v26, 0xfffffc10, v26
	v_and_or_b32 v10, 0x8000, v10, v27
	v_lshrrev_b32_e32 v24, v9, v5
	v_fma_f16 v6, v101, v11, -v6
	s_wait_alu 0xf1ff
	v_cndmask_b32_e64 v11, 0, 1, s0
	v_lshl_or_b32 v27, v26, 12, v13
	v_lshl_or_b32 v19, v10, 16, v19
	v_lshlrev_b32_e32 v9, v9, v24
	v_cvt_f32_f16_e32 v6, v6
	v_and_or_b32 v11, 0xffe, v15, v11
	v_sub_nc_u32_e32 v15, 0x3f1, v25
	v_lshlrev_b64_e32 v[7:8], 2, v[7:8]
	v_cmp_ne_u32_e64 s0, v9, v5
	v_cvt_f64_f32_e32 v[5:6], v6
	v_or_b32_e32 v28, 0x1000, v11
	v_med3_i32 v15, v15, 0, 13
	v_lshrrev_b32_e32 v14, 16, v14
	s_wait_alu 0xf1ff
	v_cndmask_b32_e64 v9, 0, 1, s0
	v_cmp_gt_i32_e64 s0, 1, v26
	s_delay_alu instid0(VALU_DEP_2) | instskip(SKIP_2) | instid1(VALU_DEP_2)
	v_or_b32_e32 v24, v24, v9
	v_lshlrev_b64_e32 v[9:10], 2, v[17:18]
	s_wait_alu 0xf1ff
	v_cndmask_b32_e64 v24, v27, v24, s0
	v_lshrrev_b32_e32 v27, v15, v28
	s_delay_alu instid0(VALU_DEP_3)
	v_add_co_u32 v9, s0, s8, v9
	v_mul_f64_e32 v[17:18], s[10:11], v[22:23]
	s_wait_alu 0xf1ff
	v_add_co_ci_u32_e64 v10, s0, s9, v10, s0
	v_and_b32_e32 v22, 7, v24
	v_add_co_u32 v7, s0, v9, v7
	v_lshlrev_b32_e32 v15, v15, v27
	s_wait_alu 0xf1ff
	v_add_co_ci_u32_e64 v8, s0, v10, v8, s0
	v_cmp_lt_i32_e64 s0, 5, v22
	v_cmp_eq_u32_e64 s1, 3, v22
	v_lshrrev_b32_e32 v9, 2, v24
	v_cmp_ne_u32_e64 s2, v15, v28
	v_add_nc_u32_e32 v15, 0xfffffc10, v25
	v_lshrrev_b32_e32 v22, 16, v12
	s_or_b32 s0, s1, s0
	global_store_b32 v[7:8], v19, off
	s_wait_alu 0xfffe
	v_add_co_ci_u32_e64 v9, s0, 0, v9, s0
	v_cndmask_b32_e64 v10, 0, 1, s2
	v_cmp_ne_u32_e64 s0, 0, v13
	v_lshl_or_b32 v23, v15, 12, v11
	v_mul_f64_e32 v[5:6], s[10:11], v[5:6]
	v_mul_f16_e32 v24, v102, v22
	v_or_b32_e32 v10, v27, v10
	s_wait_alu 0xf1ff
	v_cndmask_b32_e64 v13, 0, 1, s0
	v_cmp_gt_i32_e64 s0, 1, v15
	v_fmac_f16_e32 v24, v97, v12
	v_mul_f16_e32 v12, v102, v12
	s_delay_alu instid0(VALU_DEP_4) | instskip(SKIP_4) | instid1(VALU_DEP_3)
	v_lshl_or_b32 v13, v13, 9, 0x7c00
	s_wait_alu 0xf1ff
	v_cndmask_b32_e64 v10, v23, v10, s0
	v_cmp_gt_i32_e64 s0, 31, v26
	v_fma_f16 v12, v97, v22, -v12
	v_and_b32_e32 v19, 7, v10
	s_wait_alu 0xf1ff
	s_delay_alu instid0(VALU_DEP_3)
	v_cndmask_b32_e64 v9, 0x7c00, v9, s0
	v_cmp_eq_u32_e64 s0, 0x40f, v26
	v_and_or_b32 v17, 0x1ff, v18, v17
	v_lshrrev_b32_e32 v23, 8, v18
	v_cmp_eq_u32_e64 s1, 3, v19
	v_cvt_f32_f16_e32 v12, v12
	s_wait_alu 0xf1ff
	v_cndmask_b32_e64 v13, v9, v13, s0
	v_cvt_f32_f16_e32 v9, v24
	v_cmp_lt_i32_e64 s0, 5, v19
	v_lshrrev_b32_e32 v19, 2, v10
	v_cmp_ne_u32_e64 s2, 0, v17
	v_bfe_u32 v24, v18, 20, 11
	v_cvt_f64_f32_e32 v[9:10], v9
	s_or_b32 s0, s1, s0
	v_lshrrev_b32_e32 v18, 16, v18
	s_wait_alu 0xfffe
	v_add_co_ci_u32_e64 v19, s0, 0, v19, s0
	v_cndmask_b32_e64 v17, 0, 1, s2
	v_cmp_ne_u32_e64 s0, 0, v11
	s_delay_alu instid0(VALU_DEP_2) | instskip(SKIP_1) | instid1(VALU_DEP_2)
	v_and_or_b32 v17, 0xffe, v23, v17
	s_wait_alu 0xf1ff
	v_cndmask_b32_e64 v11, 0, 1, s0
	v_sub_nc_u32_e32 v23, 0x3f1, v24
	v_cmp_gt_i32_e64 s0, 31, v15
	v_and_or_b32 v5, 0x1ff, v6, v5
	v_or_b32_e32 v25, 0x1000, v17
	v_lshl_or_b32 v11, v11, 9, 0x7c00
	v_med3_i32 v23, v23, 0, 13
	s_wait_alu 0xf1ff
	v_cndmask_b32_e64 v19, 0x7c00, v19, s0
	v_cmp_eq_u32_e64 s0, 0x40f, v15
	v_lshrrev_b32_e32 v15, 16, v16
	v_bfe_u32 v22, v6, 20, 11
	v_lshrrev_b32_e32 v16, v23, v25
	s_wait_alu 0xf1ff
	v_cndmask_b32_e64 v11, v19, v11, s0
	v_cmp_ne_u32_e64 s0, 0, v5
	v_and_or_b32 v19, 0x8000, v14, v13
	v_lshrrev_b32_e32 v13, 8, v6
	s_delay_alu instid0(VALU_DEP_4)
	v_and_or_b32 v15, 0x8000, v15, v11
	v_lshlrev_b32_e32 v11, v23, v16
	s_wait_alu 0xf1ff
	v_cndmask_b32_e64 v5, 0, 1, s0
	v_add_nc_u32_e32 v23, 0xfffffc10, v24
	v_and_b32_e32 v19, 0xffff, v19
	v_cmp_ne_u32_e64 s0, v11, v25
	v_cvt_f64_f32_e32 v[11:12], v12
	v_and_or_b32 v5, 0xffe, v13, v5
	v_mul_f64_e32 v[9:10], s[10:11], v[9:10]
	v_sub_nc_u32_e32 v13, 0x3f1, v22
	s_wait_alu 0xf1ff
	v_cndmask_b32_e64 v14, 0, 1, s0
	v_lshl_or_b32 v24, v23, 12, v17
	v_cmp_gt_i32_e64 s0, 1, v23
	v_or_b32_e32 v25, 0x1000, v5
	v_med3_i32 v26, v13, 0, 13
	v_or_b32_e32 v16, v16, v14
	ds_load_2addr_b32 v[13:14], v66 offset0:104 offset1:156
	v_lshl_or_b32 v19, v15, 16, v19
	v_add_nc_u32_e32 v22, 0xfffffc10, v22
	s_wait_alu 0xf1ff
	v_cndmask_b32_e64 v16, v24, v16, s0
	v_lshrrev_b32_e32 v24, v26, v25
	s_mul_u64 s[0:1], s[4:5], 0x222
	s_wait_alu 0xfffe
	s_lshl_b64 s[6:7], s[0:1], 2
	v_and_b32_e32 v15, 7, v16
	s_wait_alu 0xfffe
	v_add_co_u32 v7, s0, v7, s6
	v_lshlrev_b32_e32 v26, v26, v24
	s_wait_alu 0xf1ff
	v_add_co_ci_u32_e64 v8, s0, s7, v8, s0
	v_cmp_lt_i32_e64 s0, 5, v15
	v_cmp_eq_u32_e64 s1, 3, v15
	v_lshrrev_b32_e32 v15, 2, v16
	v_cmp_ne_u32_e64 s2, v26, v25
	global_store_b32 v[7:8], v19, off
	s_wait_dscnt 0x0
	v_lshrrev_b32_e32 v25, 16, v13
	s_or_b32 s0, s1, s0
	s_wait_alu 0xfffe
	v_add_co_ci_u32_e64 v15, s0, 0, v15, s0
	v_cndmask_b32_e64 v16, 0, 1, s2
	v_cmp_gt_i32_e64 s0, 31, v23
	v_mul_f16_e32 v26, v100, v25
	v_mul_f64_e32 v[11:12], s[10:11], v[11:12]
	v_cmp_eq_u32_e64 s2, 0x40f, v23
	v_or_b32_e32 v16, v24, v16
	v_lshl_or_b32 v24, v22, 12, v5
	s_wait_alu 0xf1ff
	v_cndmask_b32_e64 v27, 0x7c00, v15, s0
	v_cmp_gt_i32_e64 s0, 1, v22
	v_fmac_f16_e32 v26, v96, v13
	v_and_or_b32 v9, 0x1ff, v10, v9
	v_bfe_u32 v29, v10, 20, 11
	v_mul_f16_e32 v13, v100, v13
	s_wait_alu 0xf1ff
	v_cndmask_b32_e64 v24, v24, v16, s0
	v_cmp_ne_u32_e64 s0, 0, v17
	v_cvt_f32_f16_e32 v15, v26
	v_lshrrev_b32_e32 v26, 8, v10
	v_lshrrev_b32_e32 v10, 16, v10
	v_and_b32_e32 v28, 7, v24
	s_wait_alu 0xf1ff
	v_cndmask_b32_e64 v17, 0, 1, s0
	v_cmp_ne_u32_e64 s0, 0, v9
	v_cvt_f64_f32_e32 v[15:16], v15
	v_lshrrev_b32_e32 v23, 2, v24
	v_cmp_eq_u32_e64 s1, 3, v28
	v_lshl_or_b32 v17, v17, 9, 0x7c00
	s_wait_alu 0xf1ff
	v_cndmask_b32_e64 v9, 0, 1, s0
	v_cmp_lt_i32_e64 s0, 5, v28
	s_delay_alu instid0(VALU_DEP_3) | instskip(NEXT) | instid1(VALU_DEP_3)
	v_cndmask_b32_e64 v17, v27, v17, s2
	v_and_or_b32 v9, 0xffe, v26, v9
	v_sub_nc_u32_e32 v26, 0x3f1, v29
	s_delay_alu instid0(VALU_DEP_4)
	s_or_b32 s0, s1, s0
	s_wait_alu 0xfffe
	v_add_co_ci_u32_e64 v23, s0, 0, v23, s0
	v_or_b32_e32 v24, 0x1000, v9
	v_med3_i32 v26, v26, 0, 13
	v_cmp_ne_u32_e64 s0, 0, v5
	v_and_or_b32 v28, 0x8000, v18, v17
	v_and_or_b32 v11, 0x1ff, v12, v11
	s_delay_alu instid0(VALU_DEP_4) | instskip(SKIP_3) | instid1(VALU_DEP_3)
	v_lshrrev_b32_e32 v27, v26, v24
	s_wait_alu 0xf1ff
	v_cndmask_b32_e64 v5, 0, 1, s0
	v_cmp_gt_i32_e64 s0, 31, v22
	v_lshlrev_b32_e32 v17, v26, v27
	s_delay_alu instid0(VALU_DEP_3) | instskip(SKIP_1) | instid1(VALU_DEP_3)
	v_lshl_or_b32 v5, v5, 9, 0x7c00
	s_wait_alu 0xf1ff
	v_cndmask_b32_e64 v23, 0x7c00, v23, s0
	v_cmp_eq_u32_e64 s0, 0x40f, v22
	v_lshrrev_b32_e32 v22, 8, v12
	s_wait_alu 0xf1ff
	s_delay_alu instid0(VALU_DEP_2)
	v_cndmask_b32_e64 v18, v23, v5, s0
	v_cmp_ne_u32_e64 s0, v17, v24
	v_fma_f16 v5, v96, v25, -v13
	v_bfe_u32 v23, v12, 20, 11
	v_lshrrev_b32_e32 v13, 16, v6
	v_add_nc_u32_e32 v24, 0xfffffc10, v29
	s_wait_alu 0xf1ff
	v_cndmask_b32_e64 v17, 0, 1, s0
	v_cmp_ne_u32_e64 s0, 0, v11
	v_cvt_f32_f16_e32 v5, v5
	v_mul_f64_e32 v[15:16], s[10:11], v[15:16]
	v_lshl_or_b32 v25, v24, 12, v9
	v_or_b32_e32 v17, v27, v17
	s_wait_alu 0xf1ff
	v_cndmask_b32_e64 v11, 0, 1, s0
	v_cvt_f64_f32_e32 v[5:6], v5
	v_cmp_gt_i32_e64 s0, 1, v24
	v_and_or_b32 v13, 0x8000, v13, v18
	v_and_b32_e32 v27, 0xffff, v28
	v_and_or_b32 v11, 0xffe, v22, v11
	v_sub_nc_u32_e32 v22, 0x3f1, v23
	s_wait_alu 0xf1ff
	v_cndmask_b32_e64 v25, v25, v17, s0
	ds_load_2addr_b32 v[17:18], v4 offset0:138 offset1:190
	s_movk_i32 s0, 0xfe12
	v_or_b32_e32 v26, 0x1000, v11
	v_med3_i32 v22, v22, 0, 13
	v_and_b32_e32 v28, 7, v25
	s_mov_b32 s1, -1
	v_lshl_or_b32 v27, v13, 16, v27
	s_wait_alu 0xfffe
	s_mul_u64 s[4:5], s[4:5], s[0:1]
	v_lshrrev_b32_e32 v4, v22, v26
	v_cmp_lt_i32_e64 s0, 5, v28
	v_cmp_eq_u32_e64 s1, 3, v28
	v_lshrrev_b32_e32 v13, 2, v25
	v_add_nc_u32_e32 v25, 0xfffffc10, v23
	v_lshlrev_b32_e32 v19, v22, v4
	s_wait_alu 0xfffe
	s_lshl_b64 s[4:5], s[4:5], 2
	s_or_b32 s0, s1, s0
	s_wait_alu 0xfffe
	v_add_co_ci_u32_e64 v13, s0, 0, v13, s0
	v_cmp_ne_u32_e64 s2, v19, v26
	v_cmp_ne_u32_e64 s0, 0, v9
	s_wait_dscnt 0x0
	v_lshrrev_b32_e32 v26, 16, v17
	s_wait_alu 0xf1ff
	v_cndmask_b32_e64 v19, 0, 1, s2
	v_cndmask_b32_e64 v9, 0, 1, s0
	v_cmp_gt_i32_e64 s0, 1, v25
	v_and_or_b32 v15, 0x1ff, v16, v15
	v_lshrrev_b32_e32 v23, 8, v16
	v_or_b32_e32 v4, v4, v19
	v_lshl_or_b32 v19, v25, 12, v11
	v_lshl_or_b32 v9, v9, 9, 0x7c00
	v_cmp_eq_u32_e64 s2, 0x40f, v24
	v_bfe_u32 v28, v16, 20, 11
	v_lshrrev_b32_e32 v16, 16, v16
	s_wait_alu 0xf1ff
	v_cndmask_b32_e64 v19, v19, v4, s0
	v_mul_f64_e32 v[4:5], s[10:11], v[5:6]
	v_mul_f16_e32 v6, v98, v26
	v_cmp_gt_i32_e64 s0, 31, v24
	s_delay_alu instid0(VALU_DEP_4) | instskip(NEXT) | instid1(VALU_DEP_3)
	v_and_b32_e32 v22, 7, v19
	v_fmac_f16_e32 v6, v93, v17
	s_wait_alu 0xf1ff
	s_delay_alu instid0(VALU_DEP_3) | instskip(SKIP_3) | instid1(VALU_DEP_4)
	v_cndmask_b32_e64 v13, 0x7c00, v13, s0
	v_cmp_ne_u32_e64 s0, 0, v15
	v_cmp_eq_u32_e64 s1, 3, v22
	v_cvt_f32_f16_e32 v6, v6
	v_cndmask_b32_e64 v9, v13, v9, s2
	s_wait_alu 0xf1ff
	v_cndmask_b32_e64 v15, 0, 1, s0
	v_cmp_lt_i32_e64 s0, 5, v22
	v_lshrrev_b32_e32 v13, 2, v19
	v_and_or_b32 v29, 0x8000, v10, v9
	s_delay_alu instid0(VALU_DEP_4)
	v_and_or_b32 v15, 0xffe, v23, v15
	v_cvt_f64_f32_e32 v[22:23], v6
	v_sub_nc_u32_e32 v6, 0x3f1, v28
	s_or_b32 s0, s1, s0
	v_mul_f16_e32 v9, v98, v17
	s_wait_alu 0xfffe
	v_add_co_ci_u32_e64 v13, s0, 0, v13, s0
	v_or_b32_e32 v19, 0x1000, v15
	v_med3_i32 v6, v6, 0, 13
	v_cmp_ne_u32_e64 s0, 0, v11
	v_fma_f16 v9, v93, v26, -v9
	s_delay_alu instid0(VALU_DEP_3) | instskip(SKIP_1) | instid1(VALU_DEP_3)
	v_lshrrev_b32_e32 v24, v6, v19
	s_wait_alu 0xf1ff
	v_cndmask_b32_e64 v11, 0, 1, s0
	v_cmp_gt_i32_e64 s0, 31, v25
	s_delay_alu instid0(VALU_DEP_3) | instskip(NEXT) | instid1(VALU_DEP_3)
	v_lshlrev_b32_e32 v6, v6, v24
	v_lshl_or_b32 v11, v11, 9, 0x7c00
	s_wait_alu 0xf1ff
	s_delay_alu instid0(VALU_DEP_3)
	v_cndmask_b32_e64 v13, 0x7c00, v13, s0
	v_cmp_eq_u32_e64 s0, 0x40f, v25
	v_and_or_b32 v4, 0x1ff, v5, v4
	v_lshrrev_b32_e32 v10, 8, v5
	v_bfe_u32 v17, v5, 20, 11
	v_lshrrev_b32_e32 v25, 16, v12
	s_wait_alu 0xf1ff
	v_cndmask_b32_e64 v13, v13, v11, s0
	v_cmp_ne_u32_e64 s0, v6, v19
	v_cvt_f32_f16_e32 v11, v9
	v_add_nc_u32_e32 v19, 0xfffffc10, v28
	s_delay_alu instid0(VALU_DEP_4)
	v_and_or_b32 v13, 0x8000, v25, v13
	s_wait_alu 0xf1ff
	v_cndmask_b32_e64 v6, 0, 1, s0
	v_cmp_ne_u32_e64 s0, 0, v4
	v_cvt_f64_f32_e32 v[11:12], v11
	v_lshl_or_b32 v26, v19, 12, v15
	s_delay_alu instid0(VALU_DEP_4)
	v_or_b32_e32 v6, v24, v6
	s_wait_alu 0xf1ff
	v_cndmask_b32_e64 v4, 0, 1, s0
	v_sub_nc_u32_e32 v24, 0x3f1, v17
	v_cmp_gt_i32_e64 s0, 1, v19
	v_add_nc_u32_e32 v17, 0xfffffc10, v17
	s_delay_alu instid0(VALU_DEP_4)
	v_and_or_b32 v4, 0xffe, v10, v4
	v_mul_f64_e32 v[9:10], s[10:11], v[22:23]
	v_med3_i32 v22, v24, 0, 13
	s_wait_alu 0xf1ff
	v_cndmask_b32_e64 v24, v26, v6, s0
	v_and_b32_e32 v23, 0xffff, v29
	v_or_b32_e32 v28, 0x1000, v4
	v_add_co_u32 v6, s0, v7, s4
	s_wait_alu 0xf1ff
	v_add_co_ci_u32_e64 v7, s0, s5, v8, s0
	s_delay_alu instid0(VALU_DEP_3) | instskip(SKIP_2) | instid1(VALU_DEP_3)
	v_lshrrev_b32_e32 v25, v22, v28
	v_and_b32_e32 v8, 7, v24
	v_lshl_or_b32 v26, v13, 16, v23
	v_lshlrev_b32_e32 v13, v22, v25
	v_add_co_u32 v22, s0, v6, s6
	s_wait_alu 0xf1ff
	v_add_co_ci_u32_e64 v23, s0, s7, v7, s0
	v_cmp_lt_i32_e64 s0, 5, v8
	v_cmp_eq_u32_e64 s1, 3, v8
	v_lshrrev_b32_e32 v8, 2, v24
	v_cmp_ne_u32_e64 s2, v13, v28
	v_lshrrev_b32_e32 v24, 16, v14
	s_clause 0x1
	global_store_b32 v[6:7], v27, off
	global_store_b32 v[22:23], v26, off
	s_or_b32 s0, s1, s0
	s_wait_alu 0xfffe
	v_add_co_ci_u32_e64 v28, s0, 0, v8, s0
	v_cndmask_b32_e64 v13, 0, 1, s2
	v_cmp_ne_u32_e64 s0, 0, v15
	v_mul_f16_e32 v29, v95, v24
	s_delay_alu instid0(VALU_DEP_3)
	v_or_b32_e32 v8, v25, v13
	v_lshl_or_b32 v13, v17, 12, v4
	s_wait_alu 0xf1ff
	v_cndmask_b32_e64 v15, 0, 1, s0
	v_cmp_gt_i32_e64 s0, 1, v17
	v_fmac_f16_e32 v29, v92, v14
	v_and_or_b32 v25, 0x1ff, v10, v9
	v_lshrrev_b32_e32 v30, 8, v10
	v_lshl_or_b32 v15, v15, 9, 0x7c00
	s_wait_alu 0xf1ff
	v_cndmask_b32_e64 v13, v13, v8, s0
	v_mul_f64_e32 v[8:9], s[10:11], v[11:12]
	v_cmp_gt_i32_e64 s0, 31, v19
	v_cvt_f32_f16_e32 v11, v29
	v_bfe_u32 v31, v10, 20, 11
	v_and_b32_e32 v29, 7, v13
	v_lshrrev_b32_e32 v13, 2, v13
	s_wait_alu 0xf1ff
	v_cndmask_b32_e64 v28, 0x7c00, v28, s0
	v_cmp_ne_u32_e64 s0, 0, v25
	v_cvt_f64_f32_e32 v[11:12], v11
	v_cmp_eq_u32_e64 s1, 3, v29
	v_mul_f16_e32 v14, v95, v14
	s_wait_alu 0xf1ff
	v_cndmask_b32_e64 v25, 0, 1, s0
	v_cmp_eq_u32_e64 s0, 0x40f, v19
	s_delay_alu instid0(VALU_DEP_3) | instskip(NEXT) | instid1(VALU_DEP_3)
	v_fma_f16 v14, v92, v24, -v14
	v_and_or_b32 v19, 0xffe, v30, v25
	s_wait_alu 0xf1ff
	s_delay_alu instid0(VALU_DEP_3)
	v_cndmask_b32_e64 v15, v28, v15, s0
	v_cmp_lt_i32_e64 s0, 5, v29
	v_sub_nc_u32_e32 v25, 0x3f1, v31
	v_cvt_f32_f16_e32 v14, v14
	v_or_b32_e32 v28, 0x1000, v19
	v_and_or_b32 v15, 0x8000, v16, v15
	s_or_b32 s0, s1, s0
	v_med3_i32 v25, v25, 0, 13
	s_wait_alu 0xfffe
	v_add_co_ci_u32_e64 v13, s0, 0, v13, s0
	v_cmp_ne_u32_e64 s0, 0, v4
	v_and_b32_e32 v15, 0xffff, v15
	v_lshrrev_b32_e32 v24, v25, v28
	s_wait_alu 0xf1ff
	s_delay_alu instid0(VALU_DEP_3) | instskip(SKIP_1) | instid1(VALU_DEP_3)
	v_cndmask_b32_e64 v4, 0, 1, s0
	v_cmp_gt_i32_e64 s0, 31, v17
	v_lshlrev_b32_e32 v16, v25, v24
	v_add_nc_u32_e32 v25, 0xfffffc10, v31
	s_delay_alu instid0(VALU_DEP_4)
	v_lshl_or_b32 v4, v4, 9, 0x7c00
	s_wait_alu 0xf1ff
	v_cndmask_b32_e64 v29, 0x7c00, v13, s0
	v_cvt_f64_f32_e32 v[13:14], v14
	v_cmp_eq_u32_e64 s0, 0x40f, v17
	s_wait_alu 0xf1ff
	s_delay_alu instid0(VALU_DEP_1)
	v_cndmask_b32_e64 v17, v29, v4, s0
	v_and_or_b32 v4, 0x1ff, v9, v8
	v_cmp_ne_u32_e64 s0, v16, v28
	v_lshrrev_b32_e32 v8, 16, v5
	v_bfe_u32 v29, v9, 20, 11
	s_wait_alu 0xf1ff
	s_delay_alu instid0(VALU_DEP_3)
	v_cndmask_b32_e64 v16, 0, 1, s0
	v_cmp_ne_u32_e64 s0, 0, v4
	v_mul_f64_e32 v[4:5], s[10:11], v[11:12]
	v_lshrrev_b32_e32 v11, 8, v9
	v_and_or_b32 v8, 0x8000, v8, v17
	v_or_b32_e32 v12, v24, v16
	s_wait_alu 0xf1ff
	v_cndmask_b32_e64 v28, 0, 1, s0
	v_lshl_or_b32 v16, v25, 12, v19
	v_cmp_gt_i32_e64 s0, 1, v25
	v_lshl_or_b32 v8, v8, 16, v15
	v_lshrrev_b32_e32 v9, 16, v9
	v_and_or_b32 v17, 0xffe, v11, v28
	v_sub_nc_u32_e32 v11, 0x3f1, v29
	s_wait_alu 0xf1ff
	v_cndmask_b32_e64 v12, v16, v12, s0
	v_add_co_u32 v6, s0, v22, s4
	v_or_b32_e32 v16, 0x1000, v17
	v_med3_i32 v11, v11, 0, 13
	s_delay_alu instid0(VALU_DEP_4)
	v_and_b32_e32 v15, 7, v12
	s_wait_alu 0xf1ff
	v_add_co_ci_u32_e64 v7, s0, s5, v23, s0
	v_lshrrev_b32_e32 v22, 16, v18
	v_lshrrev_b32_e32 v24, v11, v16
	v_cmp_lt_i32_e64 s0, 5, v15
	v_cmp_eq_u32_e64 s1, 3, v15
	v_lshrrev_b32_e32 v15, 2, v12
	v_mul_f16_e32 v26, v94, v22
	v_lshlrev_b32_e32 v23, v11, v24
	v_mul_f64_e32 v[11:12], s[10:11], v[13:14]
	s_or_b32 s0, s1, s0
	global_store_b32 v[6:7], v8, off
	s_wait_alu 0xfffe
	v_add_co_ci_u32_e64 v15, s0, 0, v15, s0
	v_cmp_ne_u32_e64 s2, v23, v16
	v_add_nc_u32_e32 v16, 0xfffffc10, v29
	v_cmp_ne_u32_e64 s0, 0, v19
	v_fmac_f16_e32 v26, v90, v18
	s_wait_alu 0xf1ff
	v_cndmask_b32_e64 v13, 0, 1, s2
	v_lshl_or_b32 v14, v16, 12, v17
	v_and_or_b32 v4, 0x1ff, v5, v4
	v_cndmask_b32_e64 v19, 0, 1, s0
	v_cmp_gt_i32_e64 s0, 1, v16
	v_or_b32_e32 v13, v24, v13
	v_cvt_f32_f16_e32 v23, v26
	v_bfe_u32 v26, v5, 20, 11
	v_lshl_or_b32 v19, v19, 9, 0x7c00
	v_cmp_eq_u32_e64 s2, 0x40f, v25
	s_wait_alu 0xf1ff
	v_cndmask_b32_e64 v24, v14, v13, s0
	v_cmp_ne_u32_e64 s0, 0, v4
	v_cvt_f64_f32_e32 v[13:14], v23
	v_lshrrev_b32_e32 v23, 8, v5
	v_lshrrev_b32_e32 v5, 16, v5
	v_and_b32_e32 v27, 7, v24
	s_wait_alu 0xf1ff
	v_cndmask_b32_e64 v4, 0, 1, s0
	v_cmp_gt_i32_e64 s0, 31, v25
	s_delay_alu instid0(VALU_DEP_3) | instskip(NEXT) | instid1(VALU_DEP_3)
	v_cmp_eq_u32_e64 s1, 3, v27
	v_and_or_b32 v23, 0xffe, v23, v4
	s_wait_alu 0xf1ff
	s_delay_alu instid0(VALU_DEP_3) | instskip(SKIP_3) | instid1(VALU_DEP_4)
	v_cndmask_b32_e64 v15, 0x7c00, v15, s0
	v_sub_nc_u32_e32 v4, 0x3f1, v26
	v_cmp_lt_i32_e64 s0, 5, v27
	v_or_b32_e32 v27, 0x1000, v23
	v_cndmask_b32_e64 v15, v15, v19, s2
	v_lshrrev_b32_e32 v19, 2, v24
	v_med3_i32 v4, v4, 0, 13
	s_or_b32 s0, s1, s0
	v_lshrrev_b32_e32 v24, 16, v10
	v_and_or_b32 v10, 0x1ff, v12, v11
	s_wait_alu 0xfffe
	v_add_co_ci_u32_e64 v19, s0, 0, v19, s0
	v_lshrrev_b32_e32 v25, v4, v27
	v_cmp_ne_u32_e64 s0, 0, v17
	v_mul_f16_e32 v11, v94, v18
	v_lshrrev_b32_e32 v18, 8, v12
	v_bfe_u32 v28, v12, 20, 11
	v_lshlrev_b32_e32 v4, v4, v25
	s_wait_alu 0xf1ff
	v_cndmask_b32_e64 v17, 0, 1, s0
	v_cmp_ne_u32_e64 s0, 0, v10
	v_fma_f16 v11, v90, v22, -v11
	v_add_nc_u32_e32 v22, 0xfffffc10, v26
	v_sub_nc_u32_e32 v26, 0x3f1, v28
	v_lshl_or_b32 v17, v17, 9, 0x7c00
	s_wait_alu 0xf1ff
	v_cndmask_b32_e64 v10, 0, 1, s0
	v_cmp_ne_u32_e64 s0, v4, v27
	v_cvt_f32_f16_e32 v27, v11
	v_med3_i32 v26, v26, 0, 13
	v_and_or_b32 v8, 0x8000, v24, v15
	v_and_or_b32 v18, 0xffe, v18, v10
	s_wait_alu 0xf1ff
	v_cndmask_b32_e64 v4, 0, 1, s0
	v_cmp_gt_i32_e64 s0, 31, v16
	v_mul_f64_e32 v[10:11], s[10:11], v[13:14]
	v_cvt_f64_f32_e32 v[13:14], v27
	v_or_b32_e32 v29, 0x1000, v18
	v_or_b32_e32 v4, v25, v4
	v_lshl_or_b32 v25, v22, 12, v23
	s_wait_alu 0xf1ff
	v_cndmask_b32_e64 v19, 0x7c00, v19, s0
	v_cmp_gt_i32_e64 s0, 1, v22
	v_lshrrev_b32_e32 v27, v26, v29
	v_and_b32_e32 v8, 0xffff, v8
	v_lshrrev_b32_e32 v12, 16, v12
	s_wait_alu 0xf1ff
	v_cndmask_b32_e64 v25, v25, v4, s0
	v_cmp_eq_u32_e64 s0, 0x40f, v16
	s_delay_alu instid0(VALU_DEP_2) | instskip(SKIP_1) | instid1(VALU_DEP_2)
	v_and_b32_e32 v16, 7, v25
	s_wait_alu 0xf1ff
	v_cndmask_b32_e64 v4, v19, v17, s0
	v_lshlrev_b32_e32 v17, v26, v27
	s_delay_alu instid0(VALU_DEP_3) | instskip(NEXT) | instid1(VALU_DEP_3)
	v_cmp_lt_i32_e64 s0, 5, v16
	v_and_or_b32 v9, 0x8000, v9, v4
	s_delay_alu instid0(VALU_DEP_3)
	v_cmp_ne_u32_e64 s1, v17, v29
	ds_load_2addr_b32 v[3:4], v3 offset0:80 offset1:132
	v_add_nc_u32_e32 v17, 0xfffffc10, v28
	v_lshl_or_b32 v24, v9, 16, v8
	s_wait_alu 0xf1ff
	v_cndmask_b32_e64 v15, 0, 1, s1
	v_cmp_eq_u32_e64 s1, 3, v16
	v_lshrrev_b32_e32 v16, 2, v25
	v_lshl_or_b32 v19, v17, 12, v18
	s_delay_alu instid0(VALU_DEP_4) | instskip(NEXT) | instid1(VALU_DEP_4)
	v_or_b32_e32 v15, v27, v15
	s_or_b32 s0, s1, s0
	s_wait_alu 0xfffe
	v_add_co_ci_u32_e64 v16, s0, 0, v16, s0
	v_cmp_gt_i32_e64 s0, 1, v17
	v_and_or_b32 v10, 0x1ff, v11, v10
	v_mul_f64_e32 v[8:9], s[10:11], v[13:14]
	v_lshrrev_b32_e32 v13, 8, v11
	v_bfe_u32 v26, v11, 20, 11
	s_wait_alu 0xf1ff
	v_cndmask_b32_e64 v15, v19, v15, s0
	v_cmp_gt_i32_e64 s0, 31, v22
	s_wait_dscnt 0x0
	v_lshrrev_b32_e32 v25, 16, v3
	s_wait_alu 0xf1ff
	s_delay_alu instid0(VALU_DEP_2)
	v_cndmask_b32_e64 v16, 0x7c00, v16, s0
	v_cmp_ne_u32_e64 s0, 0, v23
	v_and_b32_e32 v23, 7, v15
	v_mul_f16_e32 v14, v91, v25
	v_lshrrev_b32_e32 v15, 2, v15
	s_wait_alu 0xf1ff
	v_cndmask_b32_e64 v19, 0, 1, s0
	v_cmp_ne_u32_e64 s0, 0, v10
	v_cmp_eq_u32_e64 s1, 3, v23
	v_fmac_f16_e32 v14, v88, v3
	v_mul_f16_e32 v3, v91, v3
	v_lshl_or_b32 v19, v19, 9, 0x7c00
	s_wait_alu 0xf1ff
	v_cndmask_b32_e64 v10, 0, 1, s0
	v_cmp_lt_i32_e64 s0, 5, v23
	v_fma_f16 v3, v88, v25, -v3
	s_delay_alu instid0(VALU_DEP_3) | instskip(SKIP_1) | instid1(VALU_DEP_4)
	v_and_or_b32 v10, 0xffe, v13, v10
	v_sub_nc_u32_e32 v13, 0x3f1, v26
	s_or_b32 s0, s1, s0
	s_delay_alu instid0(VALU_DEP_3)
	v_cvt_f32_f16_e32 v3, v3
	s_wait_alu 0xfffe
	v_add_co_ci_u32_e64 v15, s0, 0, v15, s0
	v_cmp_ne_u32_e64 s0, 0, v18
	v_med3_i32 v27, v13, 0, 13
	v_cvt_f32_f16_e32 v13, v14
	v_or_b32_e32 v23, 0x1000, v10
	s_wait_alu 0xf1ff
	v_cndmask_b32_e64 v18, 0, 1, s0
	v_cmp_eq_u32_e64 s0, 0x40f, v22
	v_cvt_f64_f32_e32 v[13:14], v13
	v_lshrrev_b32_e32 v28, v27, v23
	v_and_or_b32 v8, 0x1ff, v9, v8
	v_lshrrev_b32_e32 v25, 8, v9
	s_wait_alu 0xf1ff
	v_cndmask_b32_e64 v19, v16, v19, s0
	v_cmp_gt_i32_e64 s0, 31, v17
	v_lshl_or_b32 v16, v18, 9, 0x7c00
	v_lshlrev_b32_e32 v18, v27, v28
	s_wait_alu 0xf1ff
	s_delay_alu instid0(VALU_DEP_3) | instskip(SKIP_2) | instid1(VALU_DEP_1)
	v_cndmask_b32_e64 v15, 0x7c00, v15, s0
	v_cmp_eq_u32_e64 s0, 0x40f, v17
	s_wait_alu 0xf1ff
	v_cndmask_b32_e64 v17, v15, v16, s0
	v_cmp_ne_u32_e64 s0, v18, v23
	v_add_nc_u32_e32 v18, 0xfffffc10, v26
	v_bfe_u32 v26, v9, 20, 11
	v_lshrrev_b32_e32 v9, 16, v9
	s_wait_alu 0xf1ff
	v_cndmask_b32_e64 v15, 0, 1, s0
	v_cmp_ne_u32_e64 s0, 0, v8
	v_lshl_or_b32 v23, v18, 12, v10
	s_delay_alu instid0(VALU_DEP_3) | instskip(SKIP_1) | instid1(VALU_DEP_3)
	v_or_b32_e32 v22, v28, v15
	s_wait_alu 0xf1ff
	v_cndmask_b32_e64 v8, 0, 1, s0
	v_cmp_gt_i32_e64 s0, 1, v18
	v_cvt_f64_f32_e32 v[15:16], v3
	v_and_or_b32 v3, 0x8000, v5, v19
	v_sub_nc_u32_e32 v5, 0x3f1, v26
	v_and_or_b32 v19, 0xffe, v25, v8
	s_wait_alu 0xf1ff
	v_cndmask_b32_e64 v22, v23, v22, s0
	v_and_or_b32 v8, 0x8000, v12, v17
	v_and_b32_e32 v17, 0xffff, v3
	v_med3_i32 v25, v5, 0, 13
	v_or_b32_e32 v23, 0x1000, v19
	v_and_b32_e32 v12, 7, v22
	ds_load_2addr_b32 v[2:3], v2 offset0:114 offset1:166
	v_add_co_u32 v5, s2, v6, s6
	s_wait_alu 0xf1ff
	v_add_co_ci_u32_e64 v6, s2, s7, v7, s2
	v_cmp_lt_i32_e64 s0, 5, v12
	v_cmp_eq_u32_e64 s1, 3, v12
	v_mul_f64_e32 v[12:13], s[10:11], v[13:14]
	v_lshrrev_b32_e32 v7, 2, v22
	v_lshrrev_b32_e32 v14, v25, v23
	v_lshl_or_b32 v22, v8, 16, v17
	s_or_b32 s0, s1, s0
	s_wait_alu 0xfffe
	v_add_co_ci_u32_e64 v7, s0, 0, v7, s0
	v_lshlrev_b32_e32 v8, v25, v14
	v_cmp_ne_u32_e64 s0, 0, v10
	s_wait_dscnt 0x0
	v_lshrrev_b32_e32 v17, 16, v2
	s_wait_alu 0xf1ff
	s_delay_alu instid0(VALU_DEP_2) | instskip(SKIP_3) | instid1(VALU_DEP_4)
	v_cndmask_b32_e64 v10, 0, 1, s0
	v_cmp_ne_u32_e64 s0, v8, v23
	v_add_nc_u32_e32 v23, 0xfffffc10, v26
	v_mul_f16_e32 v27, v89, v17
	v_lshl_or_b32 v10, v10, 9, 0x7c00
	s_wait_alu 0xf1ff
	v_cndmask_b32_e64 v8, 0, 1, s0
	v_cmp_gt_i32_e64 s0, 31, v18
	v_lshl_or_b32 v26, v23, 12, v19
	v_fmac_f16_e32 v27, v86, v2
	v_mul_f16_e32 v2, v89, v2
	v_or_b32_e32 v14, v14, v8
	s_wait_alu 0xf1ff
	v_cndmask_b32_e64 v25, 0x7c00, v7, s0
	v_mul_f64_e32 v[7:8], s[10:11], v[15:16]
	v_cmp_gt_i32_e64 s0, 1, v23
	v_lshrrev_b32_e32 v15, 16, v11
	v_fma_f16 v2, v86, v17, -v2
	s_wait_alu 0xf1ff
	s_delay_alu instid0(VALU_DEP_3) | instskip(SKIP_1) | instid1(VALU_DEP_3)
	v_cndmask_b32_e64 v16, v26, v14, s0
	v_cmp_eq_u32_e64 s0, 0x40f, v18
	v_cvt_f32_f16_e32 v2, v2
	v_and_or_b32 v12, 0x1ff, v13, v12
	s_wait_alu 0xf1ff
	s_delay_alu instid0(VALU_DEP_3) | instskip(SKIP_3) | instid1(VALU_DEP_4)
	v_cndmask_b32_e64 v14, v25, v10, s0
	v_cvt_f32_f16_e32 v25, v27
	v_and_b32_e32 v18, 7, v16
	v_add_co_u32 v10, s0, v5, s4
	v_and_or_b32 v26, 0x8000, v15, v14
	s_delay_alu instid0(VALU_DEP_4)
	v_cvt_f64_f32_e32 v[14:15], v25
	v_cmp_ne_u32_e64 s2, 0, v12
	s_wait_alu 0xf1ff
	v_add_co_ci_u32_e64 v11, s0, s5, v6, s0
	v_cmp_lt_i32_e64 s0, 5, v18
	v_cmp_eq_u32_e64 s1, 3, v18
	v_lshrrev_b32_e32 v16, 2, v16
	v_cndmask_b32_e64 v12, 0, 1, s2
	v_lshrrev_b32_e32 v18, 8, v13
	v_bfe_u32 v25, v13, 20, 11
	s_or_b32 s0, s1, s0
	global_store_b32 v[5:6], v24, off
	global_store_b32 v[10:11], v22, off
	s_wait_alu 0xfffe
	v_add_co_ci_u32_e64 v16, s0, 0, v16, s0
	v_and_or_b32 v12, 0xffe, v18, v12
	v_sub_nc_u32_e32 v18, 0x3f1, v25
	v_cmp_ne_u32_e64 s0, 0, v19
	s_delay_alu instid0(VALU_DEP_3) | instskip(NEXT) | instid1(VALU_DEP_3)
	v_or_b32_e32 v19, 0x1000, v12
	v_med3_i32 v18, v18, 0, 13
	s_wait_alu 0xf1ff
	s_delay_alu instid0(VALU_DEP_3) | instskip(SKIP_3) | instid1(VALU_DEP_4)
	v_cndmask_b32_e64 v17, 0, 1, s0
	v_cmp_gt_i32_e64 s0, 31, v23
	v_and_or_b32 v7, 0x1ff, v8, v7
	v_lshrrev_b32_e32 v29, v18, v19
	v_lshl_or_b32 v28, v17, 9, 0x7c00
	s_wait_alu 0xf1ff
	v_cndmask_b32_e64 v27, 0x7c00, v16, s0
	v_cmp_eq_u32_e64 s0, 0x40f, v23
	v_cvt_f64_f32_e32 v[16:17], v2
	v_lshlrev_b32_e32 v18, v18, v29
	v_lshrrev_b32_e32 v23, 8, v8
	s_wait_alu 0xf1ff
	v_cndmask_b32_e64 v2, v27, v28, s0
	v_cmp_ne_u32_e64 s0, 0, v7
	v_bfe_u32 v27, v8, 20, 11
	v_lshrrev_b32_e32 v8, 16, v8
	v_mul_f64_e32 v[14:15], s[10:11], v[14:15]
	s_wait_alu 0xf1ff
	v_cndmask_b32_e64 v7, 0, 1, s0
	v_cmp_ne_u32_e64 s0, v18, v19
	v_add_nc_u32_e32 v19, 0xfffffc10, v25
	v_and_or_b32 v2, 0x8000, v9, v2
	v_and_b32_e32 v9, 0xffff, v26
	v_and_or_b32 v7, 0xffe, v23, v7
	s_wait_alu 0xf1ff
	v_cndmask_b32_e64 v18, 0, 1, s0
	v_sub_nc_u32_e32 v23, 0x3f1, v27
	v_lshl_or_b32 v25, v19, 12, v12
	v_cmp_gt_i32_e64 s0, 1, v19
	v_or_b32_e32 v28, 0x1000, v7
	v_or_b32_e32 v18, v29, v18
	v_med3_i32 v23, v23, 0, 13
	v_lshl_or_b32 v2, v2, 16, v9
	s_wait_alu 0xf1ff
	s_delay_alu instid0(VALU_DEP_3) | instskip(NEXT) | instid1(VALU_DEP_3)
	v_cndmask_b32_e64 v18, v25, v18, s0
	v_lshrrev_b32_e32 v25, v23, v28
	v_add_co_u32 v5, s0, v10, s6
	s_wait_alu 0xf1ff
	v_add_co_ci_u32_e64 v6, s0, s7, v11, s0
	v_and_b32_e32 v9, 7, v18
	v_lshlrev_b32_e32 v22, v23, v25
	v_lshrrev_b32_e32 v11, 2, v18
	global_store_b32 v[5:6], v2, off
	v_cmp_lt_i32_e64 s0, 5, v9
	v_cmp_eq_u32_e64 s1, 3, v9
	v_cmp_ne_u32_e64 s2, v22, v28
	v_mul_f64_e32 v[9:10], s[10:11], v[16:17]
	v_add_nc_u32_e32 v22, 0xfffffc10, v27
	s_delay_alu instid0(VALU_DEP_4) | instskip(NEXT) | instid1(VALU_DEP_3)
	s_or_b32 s0, s1, s0
	v_cndmask_b32_e64 v18, 0, 1, s2
	s_wait_alu 0xfffe
	v_add_co_ci_u32_e64 v11, s0, 0, v11, s0
	v_cmp_ne_u32_e64 s0, 0, v12
	v_lshl_or_b32 v17, v22, 12, v7
	v_or_b32_e32 v16, v25, v18
	v_lshrrev_b32_e32 v18, 16, v4
	v_and_or_b32 v14, 0x1ff, v15, v14
	s_wait_alu 0xf1ff
	v_cndmask_b32_e64 v12, 0, 1, s0
	v_cmp_gt_i32_e64 s0, 1, v22
	v_lshrrev_b32_e32 v24, 8, v15
	v_bfe_u32 v25, v15, 20, 11
	v_lshrrev_b32_e32 v15, 16, v15
	v_lshl_or_b32 v12, v12, 9, 0x7c00
	s_wait_alu 0xf1ff
	v_cndmask_b32_e64 v16, v17, v16, s0
	v_mul_f16_e32 v17, v87, v18
	v_cmp_gt_i32_e64 s0, 31, v19
	s_delay_alu instid0(VALU_DEP_3) | instskip(NEXT) | instid1(VALU_DEP_3)
	v_and_b32_e32 v23, 7, v16
	v_fmac_f16_e32 v17, v84, v4
	s_wait_alu 0xf1ff
	s_delay_alu instid0(VALU_DEP_3)
	v_cndmask_b32_e64 v11, 0x7c00, v11, s0
	v_cmp_ne_u32_e64 s0, 0, v14
	v_mul_f16_e32 v4, v87, v4
	v_cmp_eq_u32_e64 s1, 3, v23
	v_cvt_f32_f16_e32 v17, v17
	s_wait_alu 0xf1ff
	v_cndmask_b32_e64 v14, 0, 1, s0
	v_cmp_eq_u32_e64 s0, 0x40f, v19
	v_fma_f16 v4, v84, v18, -v4
	s_wait_alu 0xf1ff
	s_delay_alu instid0(VALU_DEP_2)
	v_cndmask_b32_e64 v19, v11, v12, s0
	v_cvt_f64_f32_e32 v[11:12], v17
	v_and_or_b32 v17, 0xffe, v24, v14
	v_sub_nc_u32_e32 v14, 0x3f1, v25
	v_cmp_lt_i32_e64 s0, 5, v23
	v_lshrrev_b32_e32 v23, 16, v13
	v_lshrrev_b32_e32 v13, 2, v16
	v_or_b32_e32 v16, 0x1000, v17
	v_med3_i32 v14, v14, 0, 13
	s_or_b32 s0, s1, s0
	v_and_or_b32 v9, 0x1ff, v10, v9
	s_wait_alu 0xfffe
	v_add_co_ci_u32_e64 v13, s0, 0, v13, s0
	v_lshrrev_b32_e32 v24, v14, v16
	v_cmp_gt_i32_e64 s0, 31, v22
	v_lshrrev_b32_e32 v18, 8, v10
	v_cvt_f32_f16_e32 v4, v4
	v_bfe_u32 v27, v10, 20, 11
	v_add_nc_u32_e32 v25, 0xfffffc10, v25
	s_wait_alu 0xf1ff
	v_cndmask_b32_e64 v26, 0x7c00, v13, s0
	v_lshlrev_b32_e32 v13, v14, v24
	v_cmp_ne_u32_e64 s0, 0, v9
	v_and_or_b32 v2, 0x8000, v23, v19
	s_wait_alu 0xf1ff
	s_delay_alu instid0(VALU_DEP_2) | instskip(SKIP_3) | instid1(VALU_DEP_4)
	v_cndmask_b32_e64 v9, 0, 1, s0
	v_cmp_ne_u32_e64 s0, v13, v16
	v_cvt_f64_f32_e32 v[13:14], v4
	v_and_b32_e32 v2, 0xffff, v2
	v_and_or_b32 v4, 0xffe, v18, v9
	s_wait_alu 0xf1ff
	v_cndmask_b32_e64 v16, 0, 1, s0
	v_sub_nc_u32_e32 v9, 0x3f1, v27
	v_cmp_ne_u32_e64 s0, 0, v7
	v_lshl_or_b32 v18, v25, 12, v17
	s_delay_alu instid0(VALU_DEP_4)
	v_or_b32_e32 v16, v24, v16
	v_or_b32_e32 v24, 0x1000, v4
	s_wait_alu 0xf1ff
	v_cndmask_b32_e64 v7, 0, 1, s0
	v_med3_i32 v9, v9, 0, 13
	v_cmp_gt_i32_e64 s0, 1, v25
	v_mul_f64_e32 v[11:12], s[10:11], v[11:12]
	s_delay_alu instid0(VALU_DEP_4) | instskip(SKIP_1) | instid1(VALU_DEP_3)
	v_lshl_or_b32 v7, v7, 9, 0x7c00
	s_wait_alu 0xf1ff
	v_cndmask_b32_e64 v16, v18, v16, s0
	v_lshrrev_b32_e32 v18, v9, v24
	v_cmp_eq_u32_e64 s0, 0x40f, v22
	s_delay_alu instid0(VALU_DEP_3) | instskip(NEXT) | instid1(VALU_DEP_3)
	v_and_b32_e32 v22, 7, v16
	v_lshlrev_b32_e32 v9, v9, v18
	s_wait_alu 0xf1ff
	s_delay_alu instid0(VALU_DEP_3) | instskip(NEXT) | instid1(VALU_DEP_3)
	v_cndmask_b32_e64 v7, v26, v7, s0
	v_cmp_lt_i32_e64 s0, 5, v22
	s_delay_alu instid0(VALU_DEP_3) | instskip(NEXT) | instid1(VALU_DEP_3)
	v_cmp_ne_u32_e64 s1, v9, v24
	v_and_or_b32 v19, 0x8000, v8, v7
	v_lshrrev_b32_e32 v8, 2, v16
	v_add_nc_u32_e32 v9, 0xfffffc10, v27
	s_wait_alu 0xf1ff
	v_cndmask_b32_e64 v7, 0, 1, s1
	v_cmp_eq_u32_e64 s1, 3, v22
	v_lshrrev_b32_e32 v22, 16, v3
	v_lshl_or_b32 v16, v9, 12, v4
	s_delay_alu instid0(VALU_DEP_4) | instskip(NEXT) | instid1(VALU_DEP_4)
	v_or_b32_e32 v7, v18, v7
	s_or_b32 s0, s1, s0
	s_wait_alu 0xfffe
	v_add_co_ci_u32_e64 v18, s0, 0, v8, s0
	v_cmp_ne_u32_e64 s0, 0, v17
	s_wait_alu 0xf1ff
	s_delay_alu instid0(VALU_DEP_1) | instskip(SKIP_4) | instid1(VALU_DEP_3)
	v_cndmask_b32_e64 v17, 0, 1, s0
	v_cmp_gt_i32_e64 s0, 1, v9
	v_and_or_b32 v11, 0x1ff, v12, v11
	v_bfe_u32 v23, v12, 20, 11
	s_wait_alu 0xf1ff
	v_cndmask_b32_e64 v16, v16, v7, s0
	v_mul_f64_e32 v[7:8], s[10:11], v[13:14]
	v_cmp_gt_i32_e64 s0, 31, v25
	v_lshl_or_b32 v14, v17, 9, 0x7c00
	v_lshl_or_b32 v17, v19, 16, v2
	v_mul_f16_e32 v2, v85, v22
	v_cmp_ne_u32_e64 s2, 0, v11
	s_wait_alu 0xf1ff
	v_cndmask_b32_e64 v13, 0x7c00, v18, s0
	v_and_b32_e32 v18, 7, v16
	v_cmp_eq_u32_e64 s0, 0x40f, v25
	v_fmac_f16_e32 v2, v82, v3
	v_lshrrev_b32_e32 v16, 2, v16
	v_cndmask_b32_e64 v11, 0, 1, s2
	v_cmp_eq_u32_e64 s1, 3, v18
	s_wait_alu 0xf1ff
	v_cndmask_b32_e64 v19, v13, v14, s0
	v_cmp_lt_i32_e64 s0, 5, v18
	v_cvt_f32_f16_e32 v2, v2
	v_lshrrev_b32_e32 v18, 8, v12
	v_mul_f16_e32 v3, v85, v3
	v_lshrrev_b32_e32 v12, 16, v12
	s_or_b32 s0, s1, s0
	v_cvt_f64_f32_e32 v[13:14], v2
	s_wait_alu 0xfffe
	v_add_co_ci_u32_e64 v2, s0, 0, v16, s0
	v_cmp_ne_u32_e64 s0, 0, v4
	v_and_or_b32 v11, 0xffe, v18, v11
	v_sub_nc_u32_e32 v16, 0x3f1, v23
	v_fma_f16 v3, v82, v22, -v3
	s_wait_alu 0xf1ff
	v_cndmask_b32_e64 v4, 0, 1, s0
	v_cmp_gt_i32_e64 s0, 31, v9
	v_or_b32_e32 v18, 0x1000, v11
	v_med3_i32 v16, v16, 0, 13
	s_delay_alu instid0(VALU_DEP_4)
	v_lshl_or_b32 v4, v4, 9, 0x7c00
	s_wait_alu 0xf1ff
	v_cndmask_b32_e64 v2, 0x7c00, v2, s0
	v_cmp_eq_u32_e64 s0, 0x40f, v9
	v_lshrrev_b32_e32 v9, v16, v18
	v_and_or_b32 v7, 0x1ff, v8, v7
	s_wait_alu 0xf1ff
	s_delay_alu instid0(VALU_DEP_3) | instskip(SKIP_4) | instid1(VALU_DEP_4)
	v_cndmask_b32_e64 v2, v2, v4, s0
	v_lshrrev_b32_e32 v4, 16, v10
	v_and_or_b32 v10, 0x8000, v15, v19
	v_cmp_ne_u32_e64 s0, 0, v7
	v_bfe_u32 v19, v8, 20, 11
	v_and_or_b32 v15, 0x8000, v4, v2
	v_lshlrev_b32_e32 v4, v16, v9
	v_cvt_f32_f16_e32 v2, v3
	s_wait_alu 0xf1ff
	v_cndmask_b32_e64 v7, 0, 1, s0
	v_lshrrev_b32_e32 v16, 8, v8
	v_cmp_ne_u32_e64 s0, v4, v18
	v_cvt_f64_f32_e32 v[2:3], v2
	v_add_nc_u32_e32 v18, 0xfffffc10, v23
	s_delay_alu instid0(VALU_DEP_4)
	v_and_or_b32 v22, 0xffe, v16, v7
	v_and_b32_e32 v16, 0xffff, v10
	s_wait_alu 0xf1ff
	v_cndmask_b32_e64 v4, 0, 1, s0
	v_sub_nc_u32_e32 v7, 0x3f1, v19
	v_lshl_or_b32 v23, v18, 12, v11
	v_cmp_gt_i32_e64 s0, 1, v18
	v_or_b32_e32 v24, 0x1000, v22
	v_or_b32_e32 v4, v9, v4
	v_mul_f64_e32 v[9:10], s[10:11], v[13:14]
	v_med3_i32 v7, v7, 0, 13
	ds_load_2addr_b32 v[13:14], v1 offset0:56 offset1:108
	v_lshl_or_b32 v26, v15, 16, v16
	s_wait_alu 0xf1ff
	v_cndmask_b32_e64 v23, v23, v4, s0
	v_add_co_u32 v4, s0, v5, s4
	v_lshrrev_b32_e32 v25, v7, v24
	s_wait_alu 0xf1ff
	v_add_co_ci_u32_e64 v5, s0, s5, v6, s0
	v_and_b32_e32 v15, 7, v23
	v_add_co_u32 v6, s0, v4, s6
	v_lshlrev_b32_e32 v16, v7, v25
	s_wait_alu 0xf1ff
	v_add_co_ci_u32_e64 v7, s0, s7, v5, s0
	v_cmp_lt_i32_e64 s0, 5, v15
	v_cmp_eq_u32_e64 s1, 3, v15
	v_lshrrev_b32_e32 v15, 2, v23
	v_cmp_ne_u32_e64 s2, v16, v24
	v_add_nc_u32_e32 v19, 0xfffffc10, v19
	s_delay_alu instid0(VALU_DEP_4)
	s_or_b32 s0, s1, s0
	s_wait_dscnt 0x0
	v_lshrrev_b32_e32 v23, 16, v13
	s_wait_alu 0xfffe
	v_add_co_ci_u32_e64 v15, s0, 0, v15, s0
	v_cndmask_b32_e64 v16, 0, 1, s2
	v_cmp_ne_u32_e64 s0, 0, v11
	v_mul_f64_e32 v[2:3], s[10:11], v[2:3]
	v_lshl_or_b32 v24, v19, 12, v22
	s_delay_alu instid0(VALU_DEP_4) | instskip(SKIP_4) | instid1(VALU_DEP_3)
	v_or_b32_e32 v16, v25, v16
	v_mul_f16_e32 v25, v83, v23
	s_wait_alu 0xf1ff
	v_cndmask_b32_e64 v11, 0, 1, s0
	v_cmp_gt_i32_e64 s0, 1, v19
	v_fmac_f16_e32 v25, v80, v13
	v_and_or_b32 v9, 0x1ff, v10, v9
	s_wait_alu 0xf1ff
	s_delay_alu instid0(VALU_DEP_3)
	v_cndmask_b32_e64 v24, v24, v16, s0
	v_cmp_gt_i32_e64 s0, 31, v18
	v_lshl_or_b32 v11, v11, 9, 0x7c00
	v_cvt_f32_f16_e32 v16, v25
	v_cmp_ne_u32_e64 s1, 0, v9
	v_and_b32_e32 v27, 7, v24
	s_wait_alu 0xf1ff
	v_cndmask_b32_e64 v15, 0x7c00, v15, s0
	v_cmp_eq_u32_e64 s0, 0x40f, v18
	v_lshrrev_b32_e32 v24, 2, v24
	v_cndmask_b32_e64 v9, 0, 1, s1
	v_cmp_eq_u32_e64 s1, 3, v27
	v_lshrrev_b32_e32 v18, 8, v10
	s_wait_alu 0xf1ff
	v_cndmask_b32_e64 v11, v15, v11, s0
	v_cmp_lt_i32_e64 s0, 5, v27
	v_cvt_f64_f32_e32 v[15:16], v16
	v_bfe_u32 v25, v10, 20, 11
	v_and_or_b32 v18, 0xffe, v18, v9
	v_and_or_b32 v28, 0x8000, v12, v11
	s_or_b32 s0, s1, s0
	v_mul_f16_e32 v11, v83, v13
	s_wait_alu 0xfffe
	v_add_co_ci_u32_e64 v24, s0, 0, v24, s0
	v_sub_nc_u32_e32 v9, 0x3f1, v25
	v_cmp_ne_u32_e64 s0, 0, v22
	v_or_b32_e32 v27, 0x1000, v18
	v_lshrrev_b32_e32 v13, 16, v8
	v_lshrrev_b32_e32 v10, 16, v10
	v_med3_i32 v9, v9, 0, 13
	s_wait_alu 0xf1ff
	v_cndmask_b32_e64 v22, 0, 1, s0
	v_cmp_gt_i32_e64 s0, 31, v19
	v_and_or_b32 v2, 0x1ff, v3, v2
	v_lshrrev_b32_e32 v29, v9, v27
	s_delay_alu instid0(VALU_DEP_4)
	v_lshl_or_b32 v22, v22, 9, 0x7c00
	s_wait_alu 0xf1ff
	v_cndmask_b32_e64 v24, 0x7c00, v24, s0
	v_cmp_eq_u32_e64 s0, 0x40f, v19
	v_lshlrev_b32_e32 v8, v9, v29
	v_fma_f16 v9, v80, v23, -v11
	v_lshrrev_b32_e32 v11, 8, v3
	s_wait_alu 0xf1ff
	v_cndmask_b32_e64 v19, v24, v22, s0
	v_cmp_ne_u32_e64 s0, 0, v2
	v_bfe_u32 v22, v3, 20, 11
	v_cvt_f32_f16_e32 v12, v9
	v_add_nc_u32_e32 v24, 0xfffffc10, v25
	v_and_or_b32 v13, 0x8000, v13, v19
	s_wait_alu 0xf1ff
	v_cndmask_b32_e64 v2, 0, 1, s0
	v_cmp_ne_u32_e64 s0, v8, v27
	v_sub_nc_u32_e32 v25, 0x3f1, v22
	s_delay_alu instid0(VALU_DEP_3) | instskip(SKIP_1) | instid1(VALU_DEP_3)
	v_and_or_b32 v2, 0xffe, v11, v2
	s_wait_alu 0xf1ff
	v_cndmask_b32_e64 v23, 0, 1, s0
	v_cvt_f64_f32_e32 v[11:12], v12
	v_mul_f64_e32 v[8:9], s[10:11], v[15:16]
	v_lshl_or_b32 v16, v24, 12, v18
	v_cmp_gt_i32_e64 s0, 1, v24
	v_or_b32_e32 v15, v29, v23
	v_or_b32_e32 v19, 0x1000, v2
	v_med3_i32 v23, v25, 0, 13
	v_and_b32_e32 v25, 0xffff, v28
	s_wait_alu 0xf1ff
	v_cndmask_b32_e64 v27, v16, v15, s0
	ds_load_2addr_b32 v[15:16], v0 offset0:90 offset1:142
	v_lshrrev_b32_e32 v28, v23, v19
	global_store_b32 v[4:5], v17, off
	global_store_b32 v[6:7], v26, off
	v_add_co_u32 v4, s0, v6, s4
	v_and_b32_e32 v17, 7, v27
	v_lshlrev_b32_e32 v23, v23, v28
	s_wait_alu 0xf1ff
	v_add_co_ci_u32_e64 v5, s0, s5, v7, s0
	v_lshrrev_b32_e32 v6, 2, v27
	v_cmp_lt_i32_e64 s0, 5, v17
	v_cmp_eq_u32_e64 s1, 3, v17
	v_cmp_ne_u32_e64 s2, v23, v19
	v_add_nc_u32_e32 v17, 0xfffffc10, v22
	v_lshl_or_b32 v13, v13, 16, v25
	s_delay_alu instid0(VALU_DEP_4) | instskip(NEXT) | instid1(VALU_DEP_3)
	s_or_b32 s0, s1, s0
	v_cndmask_b32_e64 v7, 0, 1, s2
	s_wait_alu 0xfffe
	v_add_co_ci_u32_e64 v19, s0, 0, v6, s0
	s_wait_dscnt 0x0
	v_lshrrev_b32_e32 v22, 16, v15
	v_cmp_ne_u32_e64 s0, 0, v18
	v_or_b32_e32 v6, v28, v7
	v_lshl_or_b32 v7, v17, 12, v2
	v_cmp_eq_u32_e64 s2, 0x40f, v24
	v_mul_f16_e32 v23, v81, v22
	s_wait_alu 0xf1ff
	v_cndmask_b32_e64 v18, 0, 1, s0
	v_cmp_gt_i32_e64 s0, 1, v17
	global_store_b32 v[4:5], v13, off
	v_and_or_b32 v8, 0x1ff, v9, v8
	v_fmac_f16_e32 v23, v79, v15
	v_lshl_or_b32 v18, v18, 9, 0x7c00
	s_wait_alu 0xf1ff
	v_cndmask_b32_e64 v25, v7, v6, s0
	v_mul_f64_e32 v[6:7], s[10:11], v[11:12]
	v_cmp_gt_i32_e64 s0, 31, v24
	v_cvt_f32_f16_e32 v11, v23
	v_lshrrev_b32_e32 v23, 8, v9
	v_and_b32_e32 v26, 7, v25
	v_bfe_u32 v27, v9, 20, 11
	s_wait_alu 0xf1ff
	v_cndmask_b32_e64 v19, 0x7c00, v19, s0
	v_cmp_ne_u32_e64 s0, 0, v8
	v_cvt_f64_f32_e32 v[11:12], v11
	v_cmp_eq_u32_e64 s1, 3, v26
	s_delay_alu instid0(VALU_DEP_4)
	v_cndmask_b32_e64 v18, v19, v18, s2
	s_wait_alu 0xf1ff
	v_cndmask_b32_e64 v8, 0, 1, s0
	v_cmp_lt_i32_e64 s0, 5, v26
	v_lshrrev_b32_e32 v19, 2, v25
	v_add_co_u32 v4, s2, v4, s6
	s_delay_alu instid0(VALU_DEP_4)
	v_and_or_b32 v8, 0xffe, v23, v8
	v_sub_nc_u32_e32 v23, 0x3f1, v27
	s_or_b32 s0, s1, s0
	v_and_or_b32 v18, 0x8000, v10, v18
	s_wait_alu 0xfffe
	v_add_co_ci_u32_e64 v19, s0, 0, v19, s0
	v_or_b32_e32 v24, 0x1000, v8
	v_med3_i32 v23, v23, 0, 13
	v_cmp_ne_u32_e64 s0, 0, v2
	v_mul_f16_e32 v10, v81, v15
	v_and_b32_e32 v18, 0xffff, v18
	v_add_co_ci_u32_e64 v5, s2, s7, v5, s2
	s_wait_alu 0xf1ff
	v_cndmask_b32_e64 v2, 0, 1, s0
	v_lshrrev_b32_e32 v25, v23, v24
	v_cmp_gt_i32_e64 s0, 31, v17
	v_fma_f16 v10, v79, v22, -v10
	s_delay_alu instid0(VALU_DEP_4) | instskip(NEXT) | instid1(VALU_DEP_4)
	v_lshl_or_b32 v2, v2, 9, 0x7c00
	v_lshlrev_b32_e32 v23, v23, v25
	s_wait_alu 0xf1ff
	v_cndmask_b32_e64 v19, 0x7c00, v19, s0
	v_cmp_eq_u32_e64 s0, 0x40f, v17
	v_and_or_b32 v6, 0x1ff, v7, v6
	v_add_nc_u32_e32 v17, 0xfffffc10, v27
	v_cvt_f32_f16_e32 v10, v10
	s_wait_alu 0xf1ff
	v_cndmask_b32_e64 v15, v19, v2, s0
	v_cmp_ne_u32_e64 s0, v23, v24
	v_lshrrev_b32_e32 v19, 16, v3
	v_lshl_or_b32 v23, v17, 12, v8
	v_lshrrev_b32_e32 v24, 8, v7
	s_wait_alu 0xf1ff
	v_cndmask_b32_e64 v2, 0, 1, s0
	v_cmp_ne_u32_e64 s0, 0, v6
	v_and_or_b32 v15, 0x8000, v19, v15
	s_delay_alu instid0(VALU_DEP_3) | instskip(SKIP_1) | instid1(VALU_DEP_3)
	v_or_b32_e32 v22, v25, v2
	s_wait_alu 0xf1ff
	v_cndmask_b32_e64 v6, 0, 1, s0
	v_mul_f64_e32 v[2:3], s[10:11], v[11:12]
	v_cmp_gt_i32_e64 s0, 1, v17
	v_cvt_f64_f32_e32 v[10:11], v10
	v_bfe_u32 v25, v7, 20, 11
	v_and_or_b32 v6, 0xffe, v24, v6
	v_lshl_or_b32 v15, v15, 16, v18
	s_wait_alu 0xf1ff
	v_cndmask_b32_e64 v12, v23, v22, s0
	v_lshrrev_b32_e32 v7, 16, v7
	v_sub_nc_u32_e32 v19, 0x3f1, v25
	v_or_b32_e32 v13, 0x1000, v6
	global_store_b32 v[4:5], v15, off
	v_and_b32_e32 v22, 7, v12
	v_lshrrev_b32_e32 v12, 2, v12
	v_med3_i32 v19, v19, 0, 13
	v_lshrrev_b32_e32 v15, 16, v14
	s_delay_alu instid0(VALU_DEP_4) | instskip(SKIP_1) | instid1(VALU_DEP_4)
	v_cmp_lt_i32_e64 s0, 5, v22
	v_cmp_eq_u32_e64 s1, 3, v22
	v_lshrrev_b32_e32 v18, v19, v13
	s_delay_alu instid0(VALU_DEP_2) | instskip(NEXT) | instid1(VALU_DEP_1)
	s_or_b32 s0, s1, s0
	v_lshlrev_b32_e32 v19, v19, v18
	s_wait_alu 0xfffe
	v_add_co_ci_u32_e64 v12, s0, 0, v12, s0
	v_cmp_gt_i32_e64 s0, 31, v17
	s_wait_alu 0xf1ff
	s_delay_alu instid0(VALU_DEP_1) | instskip(SKIP_4) | instid1(VALU_DEP_3)
	v_cndmask_b32_e64 v22, 0x7c00, v12, s0
	v_cmp_ne_u32_e64 s0, v19, v13
	v_add_nc_u32_e32 v19, 0xfffffc10, v25
	v_mul_f16_e32 v13, v78, v15
	s_wait_alu 0xf1ff
	v_cndmask_b32_e64 v12, 0, 1, s0
	v_cmp_ne_u32_e64 s0, 0, v8
	v_and_or_b32 v2, 0x1ff, v3, v2
	v_mul_f64_e32 v[10:11], s[10:11], v[10:11]
	v_fmac_f16_e32 v13, v76, v14
	v_or_b32_e32 v12, v18, v12
	s_wait_alu 0xf1ff
	v_cndmask_b32_e64 v8, 0, 1, s0
	v_lshl_or_b32 v18, v19, 12, v6
	v_cmp_gt_i32_e64 s0, 1, v19
	v_lshrrev_b32_e32 v23, 8, v3
	v_bfe_u32 v24, v3, 20, 11
	v_lshl_or_b32 v8, v8, 9, 0x7c00
	v_mul_f16_e32 v14, v78, v14
	s_wait_alu 0xf1ff
	v_cndmask_b32_e64 v18, v18, v12, s0
	v_cmp_ne_u32_e64 s0, 0, v2
	v_cvt_f32_f16_e32 v12, v13
	v_fma_f16 v14, v76, v15, -v14
	s_delay_alu instid0(VALU_DEP_4)
	v_and_b32_e32 v25, 7, v18
	s_wait_alu 0xf1ff
	v_cndmask_b32_e64 v2, 0, 1, s0
	v_cmp_eq_u32_e64 s0, 0x40f, v17
	v_cvt_f64_f32_e32 v[12:13], v12
	v_lshrrev_b32_e32 v15, 16, v9
	v_cmp_eq_u32_e64 s1, 3, v25
	v_and_or_b32 v2, 0xffe, v23, v2
	v_sub_nc_u32_e32 v23, 0x3f1, v24
	s_wait_alu 0xf1ff
	v_cndmask_b32_e64 v17, v22, v8, s0
	v_cmp_lt_i32_e64 s0, 5, v25
	v_lshrrev_b32_e32 v9, 2, v18
	v_or_b32_e32 v22, 0x1000, v2
	v_med3_i32 v8, v23, 0, 13
	v_cvt_f32_f16_e32 v14, v14
	s_or_b32 s0, s1, s0
	v_and_or_b32 v15, 0x8000, v15, v17
	s_wait_alu 0xfffe
	v_add_co_ci_u32_e64 v23, s0, 0, v9, s0
	v_lshrrev_b32_e32 v18, v8, v22
	v_cmp_ne_u32_e64 s0, 0, v6
	s_delay_alu instid0(VALU_DEP_2) | instskip(SKIP_1) | instid1(VALU_DEP_2)
	v_lshlrev_b32_e32 v25, v8, v18
	s_wait_alu 0xf1ff
	v_cndmask_b32_e64 v6, 0, 1, s0
	v_cmp_gt_i32_e64 s0, 31, v19
	v_cvt_f64_f32_e32 v[8:9], v14
	v_and_or_b32 v10, 0x1ff, v11, v10
	s_delay_alu instid0(VALU_DEP_4)
	v_lshl_or_b32 v6, v6, 9, 0x7c00
	s_wait_alu 0xf1ff
	v_cndmask_b32_e64 v14, 0x7c00, v23, s0
	v_cmp_ne_u32_e64 s0, v25, v22
	v_add_nc_u32_e32 v23, 0xfffffc10, v24
	s_wait_alu 0xf1ff
	s_delay_alu instid0(VALU_DEP_2) | instskip(SKIP_4) | instid1(VALU_DEP_3)
	v_cndmask_b32_e64 v22, 0, 1, s0
	v_cmp_eq_u32_e64 s0, 0x40f, v19
	v_lshrrev_b32_e32 v19, 8, v11
	v_mul_f64_e32 v[12:13], s[10:11], v[12:13]
	s_wait_alu 0xf1ff
	v_cndmask_b32_e64 v6, v14, v6, s0
	v_cmp_ne_u32_e64 s0, 0, v10
	v_or_b32_e32 v14, v18, v22
	v_lshl_or_b32 v18, v23, 12, v2
	v_bfe_u32 v22, v11, 20, 11
	v_and_or_b32 v6, 0x8000, v7, v6
	s_wait_alu 0xf1ff
	v_cndmask_b32_e64 v10, 0, 1, s0
	v_cmp_gt_i32_e64 s0, 1, v23
	v_and_b32_e32 v7, 0xffff, v15
	v_sub_nc_u32_e32 v17, 0x3f1, v22
	s_delay_alu instid0(VALU_DEP_4)
	v_and_or_b32 v10, 0xffe, v19, v10
	s_wait_alu 0xf1ff
	v_cndmask_b32_e64 v14, v18, v14, s0
	v_lshrrev_b32_e32 v19, 16, v16
	v_med3_i32 v17, v17, 0, 13
	v_or_b32_e32 v15, 0x1000, v10
	s_delay_alu instid0(VALU_DEP_4) | instskip(NEXT) | instid1(VALU_DEP_1)
	v_and_b32_e32 v18, 7, v14
	v_cmp_lt_i32_e64 s0, 5, v18
	v_cmp_eq_u32_e64 s1, 3, v18
	v_lshl_or_b32 v18, v6, 16, v7
	v_lshrrev_b32_e32 v6, 2, v14
	v_lshrrev_b32_e32 v14, v17, v15
	s_delay_alu instid0(VALU_DEP_4) | instskip(SKIP_1) | instid1(VALU_DEP_2)
	s_or_b32 s0, s1, s0
	s_wait_alu 0xfffe
	v_add_co_ci_u32_e64 v24, s0, 0, v6, s0
	v_add_co_u32 v4, s0, v4, s4
	s_wait_alu 0xf1ff
	v_add_co_ci_u32_e64 v5, s0, s5, v5, s0
	v_lshlrev_b32_e32 v17, v17, v14
	v_cmp_gt_i32_e64 s0, 31, v23
	v_mul_f64_e32 v[6:7], s[10:11], v[8:9]
	v_mul_f16_e32 v8, v77, v19
	v_and_or_b32 v12, 0x1ff, v13, v12
	global_store_b32 v[4:5], v18, off
	s_wait_alu 0xf1ff
	v_cndmask_b32_e64 v24, 0x7c00, v24, s0
	v_cmp_ne_u32_e64 s0, v17, v15
	v_add_nc_u32_e32 v15, 0xfffffc10, v22
	v_fmac_f16_e32 v8, v75, v16
	v_bfe_u32 v22, v13, 20, 11
	s_wait_alu 0xf1ff
	v_cndmask_b32_e64 v9, 0, 1, s0
	v_cmp_ne_u32_e64 s0, 0, v2
	v_lshl_or_b32 v17, v15, 12, v10
	v_cvt_f32_f16_e32 v8, v8
	s_delay_alu instid0(VALU_DEP_4) | instskip(SKIP_4) | instid1(VALU_DEP_3)
	v_or_b32_e32 v14, v14, v9
	s_wait_alu 0xf1ff
	v_cndmask_b32_e64 v2, 0, 1, s0
	v_cmp_gt_i32_e64 s0, 1, v15
	v_cvt_f64_f32_e32 v[8:9], v8
	v_lshl_or_b32 v2, v2, 9, 0x7c00
	s_wait_alu 0xf1ff
	s_delay_alu instid0(VALU_DEP_3) | instskip(SKIP_3) | instid1(VALU_DEP_4)
	v_cndmask_b32_e64 v14, v17, v14, s0
	v_cmp_ne_u32_e64 s0, 0, v12
	v_lshrrev_b32_e32 v17, 8, v13
	v_lshrrev_b32_e32 v13, 16, v13
	v_and_b32_e32 v25, 7, v14
	s_wait_alu 0xf1ff
	v_cndmask_b32_e64 v12, 0, 1, s0
	v_cmp_eq_u32_e64 s0, 0x40f, v23
	v_lshrrev_b32_e32 v14, 2, v14
	v_cmp_eq_u32_e64 s1, 3, v25
	s_delay_alu instid0(VALU_DEP_4)
	v_and_or_b32 v12, 0xffe, v17, v12
	s_wait_alu 0xf1ff
	v_cndmask_b32_e64 v23, v24, v2, s0
	v_sub_nc_u32_e32 v2, 0x3f1, v22
	v_cmp_lt_i32_e64 s0, 5, v25
	v_lshrrev_b32_e32 v24, 16, v3
	v_or_b32_e32 v17, 0x1000, v12
	v_and_or_b32 v3, 0x1ff, v7, v6
	v_med3_i32 v2, v2, 0, 13
	s_or_b32 s0, s1, s0
	v_mul_f16_e32 v6, v77, v16
	s_wait_alu 0xfffe
	v_add_co_ci_u32_e64 v14, s0, 0, v14, s0
	v_lshrrev_b32_e32 v25, v2, v17
	v_cmp_ne_u32_e64 s0, 0, v10
	v_fma_f16 v6, v75, v19, -v6
	v_lshrrev_b32_e32 v16, 8, v7
	v_bfe_u32 v19, v7, 20, 11
	v_lshlrev_b32_e32 v2, v2, v25
	s_wait_alu 0xf1ff
	v_cndmask_b32_e64 v10, 0, 1, s0
	v_cmp_ne_u32_e64 s0, 0, v3
	v_cvt_f32_f16_e32 v6, v6
	v_add_nc_u32_e32 v22, 0xfffffc10, v22
	v_sub_nc_u32_e32 v26, 0x3f1, v19
	v_lshl_or_b32 v10, v10, 9, 0x7c00
	s_wait_alu 0xf1ff
	v_cndmask_b32_e64 v3, 0, 1, s0
	v_cmp_ne_u32_e64 s0, v2, v17
	v_add_nc_u32_e32 v18, 0xfffffc10, v19
	v_med3_i32 v26, v26, 0, 13
	s_delay_alu instid0(VALU_DEP_4)
	v_and_or_b32 v16, 0xffe, v16, v3
	s_wait_alu 0xf1ff
	v_cndmask_b32_e64 v17, 0, 1, s0
	v_cmp_gt_i32_e64 s0, 31, v15
	v_mul_f64_e32 v[2:3], s[10:11], v[8:9]
	v_cvt_f64_f32_e32 v[8:9], v6
	s_delay_alu instid0(VALU_DEP_4)
	v_or_b32_e32 v6, v25, v17
	v_lshl_or_b32 v17, v22, 12, v12
	v_or_b32_e32 v25, 0x1000, v16
	s_wait_alu 0xf1ff
	v_cndmask_b32_e64 v14, 0x7c00, v14, s0
	v_cmp_gt_i32_e64 s0, 1, v22
	s_wait_alu 0xf1ff
	s_delay_alu instid0(VALU_DEP_1) | instskip(SKIP_3) | instid1(VALU_DEP_4)
	v_cndmask_b32_e64 v6, v17, v6, s0
	v_lshrrev_b32_e32 v17, v26, v25
	v_cmp_eq_u32_e64 s0, 0x40f, v15
	v_lshrrev_b32_e32 v15, 16, v11
	v_and_b32_e32 v27, 7, v6
	s_delay_alu instid0(VALU_DEP_4)
	v_lshlrev_b32_e32 v26, v26, v17
	s_wait_alu 0xf1ff
	v_cndmask_b32_e64 v14, v14, v10, s0
	ds_load_2addr_b32 v[10:11], v1 offset0:160 offset1:212
	v_and_or_b32 v1, 0x8000, v24, v23
	v_cmp_lt_i32_e64 s0, 5, v27
	v_cmp_ne_u32_e64 s1, v26, v25
	v_and_or_b32 v14, 0x8000, v15, v14
	s_delay_alu instid0(VALU_DEP_4)
	v_and_b32_e32 v19, 0xffff, v1
	v_lshrrev_b32_e32 v1, 2, v6
	s_wait_alu 0xf1ff
	v_cndmask_b32_e64 v15, 0, 1, s1
	v_cmp_eq_u32_e64 s1, 3, v27
	v_lshl_or_b32 v19, v14, 16, v19
	s_delay_alu instid0(VALU_DEP_3) | instskip(NEXT) | instid1(VALU_DEP_3)
	v_or_b32_e32 v6, v17, v15
	s_or_b32 s0, s1, s0
	v_lshl_or_b32 v15, v18, 12, v16
	s_wait_alu 0xfffe
	v_add_co_ci_u32_e64 v17, s0, 0, v1, s0
	v_cmp_ne_u32_e64 s0, 0, v12
	v_and_or_b32 v23, 0x1ff, v3, v2
	v_mul_f64_e32 v[1:2], s[10:11], v[8:9]
	v_lshrrev_b32_e32 v24, 8, v3
	v_bfe_u32 v25, v3, 20, 11
	s_wait_alu 0xf1ff
	v_cndmask_b32_e64 v12, 0, 1, s0
	v_cmp_gt_i32_e64 s0, 1, v18
	v_lshrrev_b32_e32 v3, 16, v3
	s_delay_alu instid0(VALU_DEP_3) | instskip(SKIP_1) | instid1(VALU_DEP_3)
	v_lshl_or_b32 v12, v12, 9, 0x7c00
	s_wait_alu 0xf1ff
	v_cndmask_b32_e64 v6, v15, v6, s0
	s_wait_dscnt 0x0
	v_lshrrev_b32_e32 v15, 16, v10
	v_cmp_gt_i32_e64 s0, 31, v22
	s_delay_alu instid0(VALU_DEP_2) | instskip(SKIP_1) | instid1(VALU_DEP_2)
	v_mul_f16_e32 v9, v74, v15
	s_wait_alu 0xf1ff
	v_cndmask_b32_e64 v8, 0x7c00, v17, s0
	v_cmp_ne_u32_e64 s0, 0, v23
	v_and_b32_e32 v17, 7, v6
	v_lshrrev_b32_e32 v6, 2, v6
	v_fmac_f16_e32 v9, v73, v10
	v_mul_f16_e32 v10, v74, v10
	s_wait_alu 0xf1ff
	v_cndmask_b32_e64 v23, 0, 1, s0
	v_cmp_eq_u32_e64 s0, 0x40f, v22
	v_cmp_eq_u32_e64 s1, 3, v17
	s_delay_alu instid0(VALU_DEP_3) | instskip(SKIP_1) | instid1(VALU_DEP_3)
	v_and_or_b32 v22, 0xffe, v24, v23
	s_wait_alu 0xf1ff
	v_cndmask_b32_e64 v12, v8, v12, s0
	v_cvt_f32_f16_e32 v8, v9
	v_cmp_lt_i32_e64 s0, 5, v17
	v_sub_nc_u32_e32 v23, 0x3f1, v25
	v_or_b32_e32 v17, 0x1000, v22
	v_and_or_b32 v12, 0x8000, v13, v12
	v_cvt_f64_f32_e32 v[8:9], v8
	s_or_b32 s0, s1, s0
	v_med3_i32 v23, v23, 0, 13
	s_wait_alu 0xfffe
	v_add_co_ci_u32_e64 v6, s0, 0, v6, s0
	v_cmp_ne_u32_e64 s0, 0, v16
	v_and_or_b32 v1, 0x1ff, v2, v1
	v_lshrrev_b32_e32 v24, v23, v17
	v_and_b32_e32 v12, 0xffff, v12
	s_wait_alu 0xf1ff
	v_cndmask_b32_e64 v16, 0, 1, s0
	v_cmp_gt_i32_e64 s0, 31, v18
	v_lshlrev_b32_e32 v13, v23, v24
	s_delay_alu instid0(VALU_DEP_3) | instskip(SKIP_1) | instid1(VALU_DEP_3)
	v_lshl_or_b32 v16, v16, 9, 0x7c00
	s_wait_alu 0xf1ff
	v_cndmask_b32_e64 v6, 0x7c00, v6, s0
	v_cmp_eq_u32_e64 s0, 0x40f, v18
	v_lshrrev_b32_e32 v18, 16, v7
	s_wait_alu 0xf1ff
	s_delay_alu instid0(VALU_DEP_2)
	v_cndmask_b32_e64 v16, v6, v16, s0
	v_fma_f16 v6, v73, v15, -v10
	v_cmp_ne_u32_e64 s0, v13, v17
	v_add_nc_u32_e32 v17, 0xfffffc10, v25
	v_lshrrev_b32_e32 v13, 8, v2
	v_bfe_u32 v15, v2, 20, 11
	v_cvt_f32_f16_e32 v6, v6
	s_wait_alu 0xf1ff
	v_cndmask_b32_e64 v10, 0, 1, s0
	v_cmp_ne_u32_e64 s0, 0, v1
	v_lshl_or_b32 v23, v17, 12, v22
	v_and_or_b32 v14, 0x8000, v18, v16
	v_cvt_f64_f32_e32 v[6:7], v6
	v_or_b32_e32 v10, v24, v10
	s_wait_alu 0xf1ff
	v_cndmask_b32_e64 v1, 0, 1, s0
	v_cmp_gt_i32_e64 s0, 1, v17
	v_lshl_or_b32 v25, v14, 16, v12
	v_mul_f64_e32 v[8:9], s[10:11], v[8:9]
	s_delay_alu instid0(VALU_DEP_4)
	v_and_or_b32 v24, 0xffe, v13, v1
	ds_load_2addr_b32 v[0:1], v0 offset0:194 offset1:246
	v_sub_nc_u32_e32 v13, 0x3f1, v15
	s_wait_alu 0xf1ff
	v_cndmask_b32_e64 v10, v23, v10, s0
	v_add_co_u32 v4, s0, v4, s6
	v_or_b32_e32 v23, 0x1000, v24
	v_med3_i32 v13, v13, 0, 13
	s_delay_alu instid0(VALU_DEP_4)
	v_and_b32_e32 v16, 7, v10
	s_wait_alu 0xf1ff
	v_add_co_ci_u32_e64 v5, s0, s7, v5, s0
	v_lshrrev_b32_e32 v10, 2, v10
	v_lshrrev_b32_e32 v18, v13, v23
	v_cmp_lt_i32_e64 s0, 5, v16
	v_cmp_eq_u32_e64 s1, 3, v16
	s_delay_alu instid0(VALU_DEP_3) | instskip(NEXT) | instid1(VALU_DEP_2)
	v_lshlrev_b32_e32 v12, v13, v18
	s_or_b32 s0, s1, s0
	s_wait_dscnt 0x0
	v_lshrrev_b32_e32 v16, 16, v0
	s_delay_alu instid0(VALU_DEP_2)
	v_cmp_ne_u32_e64 s2, v12, v23
	s_wait_alu 0xfffe
	v_add_co_ci_u32_e64 v10, s0, 0, v10, s0
	v_add_nc_u32_e32 v23, 0xfffffc10, v15
	v_mul_f16_e32 v13, v72, v16
	s_wait_alu 0xf1ff
	v_cndmask_b32_e64 v12, 0, 1, s2
	v_cmp_ne_u32_e64 s0, 0, v22
	v_lshl_or_b32 v14, v23, 12, v24
	v_fmac_f16_e32 v13, v71, v0
	s_delay_alu instid0(VALU_DEP_4)
	v_or_b32_e32 v12, v18, v12
	s_wait_alu 0xf1ff
	v_cndmask_b32_e64 v15, 0, 1, s0
	v_mul_f64_e32 v[6:7], s[10:11], v[6:7]
	v_cmp_gt_i32_e64 s0, 1, v23
	v_and_or_b32 v8, 0x1ff, v9, v8
	v_mul_f16_e32 v0, v72, v0
	v_lshl_or_b32 v22, v15, 9, 0x7c00
	s_wait_alu 0xf1ff
	v_cndmask_b32_e64 v18, v14, v12, s0
	v_cvt_f32_f16_e32 v12, v13
	v_cmp_gt_i32_e64 s0, 31, v17
	v_cmp_ne_u32_e64 s1, 0, v8
	v_fma_f16 v0, v71, v16, -v0
	v_and_b32_e32 v26, 7, v18
	v_cvt_f64_f32_e32 v[12:13], v12
	s_wait_alu 0xf1ff
	v_cndmask_b32_e64 v10, 0x7c00, v10, s0
	v_add_co_u32 v14, s0, v4, s4
	s_wait_alu 0xf1ff
	v_add_co_ci_u32_e64 v15, s0, s5, v5, s0
	v_cmp_eq_u32_e64 s0, 0x40f, v17
	v_cndmask_b32_e64 v8, 0, 1, s1
	v_cmp_eq_u32_e64 s1, 3, v26
	v_lshrrev_b32_e32 v18, 2, v18
	v_lshrrev_b32_e32 v17, 8, v9
	s_wait_alu 0xf1ff
	v_cndmask_b32_e64 v10, v10, v22, s0
	v_cmp_lt_i32_e64 s0, 5, v26
	v_bfe_u32 v22, v9, 20, 11
	v_cvt_f32_f16_e32 v0, v0
	v_and_or_b32 v8, 0xffe, v17, v8
	v_and_or_b32 v10, 0x8000, v3, v10
	s_or_b32 s0, s1, s0
	v_sub_nc_u32_e32 v17, 0x3f1, v22
	s_wait_alu 0xfffe
	v_add_co_ci_u32_e64 v18, s0, 0, v18, s0
	v_cmp_ne_u32_e64 s0, 0, v24
	v_or_b32_e32 v26, 0x1000, v8
	v_med3_i32 v17, v17, 0, 13
	v_add_nc_u32_e32 v16, 0xfffffc10, v22
	v_and_b32_e32 v10, 0xffff, v10
	s_wait_alu 0xf1ff
	v_cndmask_b32_e64 v24, 0, 1, s0
	v_cmp_gt_i32_e64 s0, 31, v23
	v_lshrrev_b32_e32 v27, v17, v26
	v_and_or_b32 v3, 0x1ff, v7, v6
	v_bfe_u32 v28, v7, 20, 11
	v_lshl_or_b32 v24, v24, 9, 0x7c00
	s_wait_alu 0xf1ff
	v_cndmask_b32_e64 v18, 0x7c00, v18, s0
	v_cmp_eq_u32_e64 s0, 0x40f, v23
	v_lshlrev_b32_e32 v17, v17, v27
	v_sub_nc_u32_e32 v22, 0x3f1, v28
	global_store_b32 v[4:5], v19, off
	global_store_b32 v[14:15], v25, off
	v_cmp_eq_u32_e64 s2, 0x40f, v16
	s_wait_alu 0xf1ff
	v_cndmask_b32_e64 v6, v18, v24, s0
	v_cmp_ne_u32_e64 s0, 0, v3
	v_lshrrev_b32_e32 v18, 16, v2
	v_lshrrev_b32_e32 v24, 8, v7
	v_mul_f64_e32 v[2:3], s[10:11], v[12:13]
	v_lshrrev_b32_e32 v9, 16, v9
	s_wait_alu 0xf1ff
	v_cndmask_b32_e64 v23, 0, 1, s0
	v_cmp_ne_u32_e64 s0, v17, v26
	v_and_or_b32 v6, 0x8000, v18, v6
	v_lshrrev_b32_e32 v7, 16, v7
	s_delay_alu instid0(VALU_DEP_4)
	v_and_or_b32 v17, 0xffe, v24, v23
	s_wait_alu 0xf1ff
	v_cndmask_b32_e64 v12, 0, 1, s0
	v_lshl_or_b32 v24, v16, 12, v8
	v_cmp_gt_i32_e64 s0, 1, v16
	v_lshl_or_b32 v19, v6, 16, v10
	v_or_b32_e32 v26, 0x1000, v17
	v_or_b32_e32 v23, v27, v12
	v_cvt_f64_f32_e32 v[12:13], v0
	v_med3_i32 v0, v22, 0, 13
	v_lshrrev_b32_e32 v10, 16, v11
	s_wait_alu 0xf1ff
	v_cndmask_b32_e64 v18, v24, v23, s0
	v_add_co_u32 v4, s0, v14, s6
	v_lshrrev_b32_e32 v22, v0, v26
	s_wait_alu 0xf1ff
	v_add_co_ci_u32_e64 v5, s0, s7, v15, s0
	v_and_b32_e32 v6, 7, v18
	v_add_nc_u32_e32 v23, 0xfffffc10, v28
	v_lshlrev_b32_e32 v0, v0, v22
	v_mul_f16_e32 v14, v70, v10
	s_delay_alu instid0(VALU_DEP_4) | instskip(NEXT) | instid1(VALU_DEP_4)
	v_cmp_lt_i32_e64 s0, 5, v6
	v_lshl_or_b32 v15, v23, 12, v17
	s_delay_alu instid0(VALU_DEP_4) | instskip(NEXT) | instid1(VALU_DEP_4)
	v_cmp_ne_u32_e64 s1, v0, v26
	v_fmac_f16_e32 v14, v68, v11
	v_mul_f16_e32 v11, v70, v11
	s_wait_alu 0xf1ff
	s_delay_alu instid0(VALU_DEP_3)
	v_cndmask_b32_e64 v0, 0, 1, s1
	v_cmp_eq_u32_e64 s1, 3, v6
	v_lshrrev_b32_e32 v6, 2, v18
	v_and_or_b32 v2, 0x1ff, v3, v2
	v_cvt_f32_f16_e32 v14, v14
	v_or_b32_e32 v0, v22, v0
	s_or_b32 s0, s1, s0
	v_lshrrev_b32_e32 v18, 8, v3
	s_wait_alu 0xfffe
	v_add_co_ci_u32_e64 v6, s0, 0, v6, s0
	v_cmp_gt_i32_e64 s0, 1, v23
	v_bfe_u32 v22, v3, 20, 11
	v_fma_f16 v10, v68, v10, -v11
	s_wait_alu 0xf1ff
	s_delay_alu instid0(VALU_DEP_3) | instskip(SKIP_3) | instid1(VALU_DEP_4)
	v_cndmask_b32_e64 v0, v15, v0, s0
	v_cmp_ne_u32_e64 s0, 0, v2
	v_cvt_f64_f32_e32 v[14:15], v14
	v_mul_f64_e32 v[12:13], s[10:11], v[12:13]
	v_and_b32_e32 v24, 7, v0
	s_wait_alu 0xf1ff
	v_cndmask_b32_e64 v2, 0, 1, s0
	v_cmp_ne_u32_e64 s0, 0, v8
	v_lshrrev_b32_e32 v0, 2, v0
	v_cmp_eq_u32_e64 s1, 3, v24
	s_delay_alu instid0(VALU_DEP_4)
	v_and_or_b32 v2, 0xffe, v18, v2
	s_wait_alu 0xf1ff
	v_cndmask_b32_e64 v8, 0, 1, s0
	v_cmp_gt_i32_e64 s0, 31, v16
	v_sub_nc_u32_e32 v18, 0x3f1, v22
	v_add_nc_u32_e32 v22, 0xfffffc10, v22
	v_or_b32_e32 v25, 0x1000, v2
	v_lshl_or_b32 v8, v8, 9, 0x7c00
	s_wait_alu 0xf1ff
	v_cndmask_b32_e64 v6, 0x7c00, v6, s0
	v_cmp_lt_i32_e64 s0, 5, v24
	v_med3_i32 v18, v18, 0, 13
	s_delay_alu instid0(VALU_DEP_3) | instskip(NEXT) | instid1(VALU_DEP_3)
	v_cndmask_b32_e64 v6, v6, v8, s2
	s_or_b32 s0, s1, s0
	s_delay_alu instid0(VALU_DEP_2) | instskip(SKIP_3) | instid1(VALU_DEP_3)
	v_lshrrev_b32_e32 v8, v18, v25
	s_wait_alu 0xfffe
	v_add_co_ci_u32_e64 v0, s0, 0, v0, s0
	v_cmp_ne_u32_e64 s0, 0, v17
	v_lshlrev_b32_e32 v17, v18, v8
	v_and_or_b32 v18, 0x8000, v9, v6
	s_wait_alu 0xf1ff
	s_delay_alu instid0(VALU_DEP_3) | instskip(SKIP_1) | instid1(VALU_DEP_2)
	v_cndmask_b32_e64 v16, 0, 1, s0
	v_cmp_gt_i32_e64 s0, 31, v23
	v_lshl_or_b32 v16, v16, 9, 0x7c00
	s_wait_alu 0xf1ff
	s_delay_alu instid0(VALU_DEP_2) | instskip(SKIP_3) | instid1(VALU_DEP_2)
	v_cndmask_b32_e64 v0, 0x7c00, v0, s0
	v_cmp_ne_u32_e64 s0, v17, v25
	v_and_or_b32 v12, 0x1ff, v13, v12
	s_wait_alu 0xf1ff
	v_cndmask_b32_e64 v17, 0, 1, s0
	v_cmp_eq_u32_e64 s0, 0x40f, v23
	s_delay_alu instid0(VALU_DEP_2) | instskip(SKIP_2) | instid1(VALU_DEP_3)
	v_or_b32_e32 v6, v8, v17
	v_mul_f64_e32 v[8:9], s[10:11], v[14:15]
	s_wait_alu 0xf1ff
	v_cndmask_b32_e64 v0, v0, v16, s0
	v_lshl_or_b32 v14, v22, 12, v2
	v_cmp_gt_i32_e64 s0, 1, v22
	v_and_b32_e32 v17, 0xffff, v18
	v_lshrrev_b32_e32 v16, 16, v1
	v_and_or_b32 v0, 0x8000, v7, v0
	s_wait_alu 0xf1ff
	v_cndmask_b32_e64 v11, v14, v6, s0
	v_cmp_ne_u32_e64 s0, 0, v12
	v_cvt_f32_f16_e32 v6, v10
	v_lshrrev_b32_e32 v10, 8, v13
	v_bfe_u32 v14, v13, 20, 11
	v_and_b32_e32 v15, 7, v11
	s_wait_alu 0xf1ff
	v_cndmask_b32_e64 v12, 0, 1, s0
	v_cvt_f64_f32_e32 v[6:7], v6
	v_mul_f16_e32 v23, v69, v16
	v_cmp_lt_i32_e64 s0, 5, v15
	s_delay_alu instid0(VALU_DEP_4)
	v_and_or_b32 v12, 0xffe, v10, v12
	v_sub_nc_u32_e32 v10, 0x3f1, v14
	v_cmp_eq_u32_e64 s1, 3, v15
	v_lshl_or_b32 v15, v0, 16, v17
	v_lshrrev_b32_e32 v0, 2, v11
	v_or_b32_e32 v18, 0x1000, v12
	v_med3_i32 v10, v10, 0, 13
	s_or_b32 s0, s1, s0
	v_fmac_f16_e32 v23, v67, v1
	s_wait_alu 0xfffe
	v_add_co_ci_u32_e64 v0, s0, 0, v0, s0
	v_lshrrev_b32_e32 v17, v10, v18
	v_cmp_ne_u32_e64 s0, 0, v2
	v_add_nc_u32_e32 v14, 0xfffffc10, v14
	v_mul_f16_e32 v1, v69, v1
	s_delay_alu instid0(VALU_DEP_4)
	v_lshlrev_b32_e32 v24, v10, v17
	s_wait_alu 0xf1ff
	v_cndmask_b32_e64 v2, 0, 1, s0
	v_cmp_gt_i32_e64 s0, 31, v22
	v_cvt_f32_f16_e32 v10, v23
	v_fma_f16 v16, v67, v16, -v1
	s_delay_alu instid0(VALU_DEP_4)
	v_lshl_or_b32 v2, v2, 9, 0x7c00
	s_wait_alu 0xf1ff
	v_cndmask_b32_e64 v23, 0x7c00, v0, s0
	v_and_or_b32 v0, 0x1ff, v9, v8
	v_cmp_ne_u32_e64 s0, v24, v18
	v_cvt_f64_f32_e32 v[10:11], v10
	v_lshrrev_b32_e32 v18, 8, v9
	v_lshl_or_b32 v24, v14, 12, v12
	s_wait_alu 0xf1ff
	v_cndmask_b32_e64 v8, 0, 1, s0
	v_cmp_ne_u32_e64 s0, 0, v0
	s_delay_alu instid0(VALU_DEP_2) | instskip(SKIP_1) | instid1(VALU_DEP_2)
	v_or_b32_e32 v8, v17, v8
	s_wait_alu 0xf1ff
	v_cndmask_b32_e64 v0, 0, 1, s0
	v_bfe_u32 v17, v9, 20, 11
	v_cmp_gt_i32_e64 s0, 1, v14
	v_lshrrev_b32_e32 v9, 16, v9
	s_delay_alu instid0(VALU_DEP_4)
	v_and_or_b32 v18, 0xffe, v18, v0
	v_mul_f64_e32 v[0:1], s[10:11], v[6:7]
	v_sub_nc_u32_e32 v6, 0x3f1, v17
	s_wait_alu 0xf1ff
	v_cndmask_b32_e64 v8, v24, v8, s0
	v_cvt_f32_f16_e32 v7, v16
	v_cmp_eq_u32_e64 s0, 0x40f, v22
	v_or_b32_e32 v16, 0x1000, v18
	v_med3_i32 v24, v6, 0, 13
	v_and_b32_e32 v25, 7, v8
	v_cvt_f64_f32_e32 v[6:7], v7
	s_wait_alu 0xf1ff
	v_cndmask_b32_e64 v22, v23, v2, s0
	v_add_co_u32 v2, s0, v4, s4
	v_lshrrev_b32_e32 v26, v24, v16
	v_lshrrev_b32_e32 v23, 16, v3
	s_wait_alu 0xf1ff
	v_add_co_ci_u32_e64 v3, s0, s5, v5, s0
	v_cmp_lt_i32_e64 s0, 5, v25
	v_cmp_eq_u32_e64 s1, 3, v25
	v_lshrrev_b32_e32 v8, 2, v8
	v_lshlrev_b32_e32 v24, v24, v26
	v_add_nc_u32_e32 v17, 0xfffffc10, v17
	v_and_or_b32 v22, 0x8000, v23, v22
	s_or_b32 s0, s1, s0
	v_mul_f64_e32 v[10:11], s[10:11], v[10:11]
	s_wait_alu 0xfffe
	v_add_co_ci_u32_e64 v8, s0, 0, v8, s0
	v_cmp_ne_u32_e64 s2, v24, v16
	v_cmp_ne_u32_e64 s0, 0, v12
	v_lshl_or_b32 v23, v17, 12, v18
	s_wait_alu 0xf1ff
	s_delay_alu instid0(VALU_DEP_3) | instskip(NEXT) | instid1(VALU_DEP_3)
	v_cndmask_b32_e64 v16, 0, 1, s2
	v_cndmask_b32_e64 v12, 0, 1, s0
	v_cmp_gt_i32_e64 s0, 31, v14
	s_delay_alu instid0(VALU_DEP_3) | instskip(NEXT) | instid1(VALU_DEP_3)
	v_or_b32_e32 v16, v26, v16
	v_lshl_or_b32 v12, v12, 9, 0x7c00
	s_wait_alu 0xf1ff
	s_delay_alu instid0(VALU_DEP_3) | instskip(SKIP_3) | instid1(VALU_DEP_2)
	v_cndmask_b32_e64 v8, 0x7c00, v8, s0
	v_cmp_gt_i32_e64 s0, 1, v17
	v_and_or_b32 v0, 0x1ff, v1, v0
	s_wait_alu 0xf1ff
	v_cndmask_b32_e64 v16, v23, v16, s0
	v_cmp_eq_u32_e64 s0, 0x40f, v14
	v_lshrrev_b32_e32 v14, 8, v1
	v_mul_f64_e32 v[6:7], s[10:11], v[6:7]
	v_bfe_u32 v23, v1, 20, 11
	v_lshrrev_b32_e32 v1, 16, v1
	s_wait_alu 0xf1ff
	v_cndmask_b32_e64 v8, v8, v12, s0
	v_lshrrev_b32_e32 v12, 16, v13
	v_cmp_ne_u32_e64 s0, 0, v0
	v_and_b32_e32 v13, 7, v16
	s_delay_alu instid0(VALU_DEP_3)
	v_and_or_b32 v8, 0x8000, v12, v8
	v_and_b32_e32 v12, 0xffff, v22
	s_wait_alu 0xf1ff
	v_cndmask_b32_e64 v0, 0, 1, s0
	v_cmp_lt_i32_e64 s0, 5, v13
	v_cmp_eq_u32_e64 s1, 3, v13
	v_and_or_b32 v10, 0x1ff, v11, v10
	v_lshl_or_b32 v12, v8, 16, v12
	v_lshrrev_b32_e32 v8, 2, v16
	v_and_or_b32 v0, 0xffe, v14, v0
	v_sub_nc_u32_e32 v14, 0x3f1, v23
	s_or_b32 s0, s1, s0
	v_lshrrev_b32_e32 v22, 8, v11
	s_wait_alu 0xfffe
	v_add_co_ci_u32_e64 v8, s0, 0, v8, s0
	v_or_b32_e32 v13, 0x1000, v0
	v_med3_i32 v14, v14, 0, 13
	v_cmp_ne_u32_e64 s0, 0, v18
	v_bfe_u32 v24, v11, 20, 11
	v_lshrrev_b32_e32 v11, 16, v11
	s_delay_alu instid0(VALU_DEP_4) | instskip(SKIP_3) | instid1(VALU_DEP_3)
	v_lshrrev_b32_e32 v18, v14, v13
	s_wait_alu 0xf1ff
	v_cndmask_b32_e64 v16, 0, 1, s0
	v_cmp_gt_i32_e64 s0, 31, v17
	v_lshlrev_b32_e32 v14, v14, v18
	s_delay_alu instid0(VALU_DEP_3) | instskip(SKIP_1) | instid1(VALU_DEP_3)
	v_lshl_or_b32 v16, v16, 9, 0x7c00
	s_wait_alu 0xf1ff
	v_cndmask_b32_e64 v8, 0x7c00, v8, s0
	v_cmp_ne_u32_e64 s0, 0, v10
	v_and_or_b32 v6, 0x1ff, v7, v6
	s_wait_alu 0xf1ff
	s_delay_alu instid0(VALU_DEP_2) | instskip(SKIP_3) | instid1(VALU_DEP_4)
	v_cndmask_b32_e64 v10, 0, 1, s0
	v_cmp_ne_u32_e64 s0, v14, v13
	v_add_nc_u32_e32 v14, 0xfffffc10, v23
	v_bfe_u32 v23, v7, 20, 11
	v_and_or_b32 v10, 0xffe, v22, v10
	s_wait_alu 0xf1ff
	v_cndmask_b32_e64 v13, 0, 1, s0
	v_sub_nc_u32_e32 v22, 0x3f1, v24
	v_cmp_eq_u32_e64 s0, 0x40f, v17
	v_or_b32_e32 v17, 0x1000, v10
	s_delay_alu instid0(VALU_DEP_4) | instskip(NEXT) | instid1(VALU_DEP_4)
	v_or_b32_e32 v13, v18, v13
	v_med3_i32 v18, v22, 0, 13
	s_wait_alu 0xf1ff
	v_cndmask_b32_e64 v8, v8, v16, s0
	v_lshl_or_b32 v16, v14, 12, v0
	v_cmp_gt_i32_e64 s0, 1, v14
	v_lshrrev_b32_e32 v22, 8, v7
	s_delay_alu instid0(VALU_DEP_4)
	v_and_or_b32 v8, 0x8000, v9, v8
	v_sub_nc_u32_e32 v9, 0x3f1, v23
	s_wait_alu 0xf1ff
	v_cndmask_b32_e64 v13, v16, v13, s0
	v_lshrrev_b32_e32 v16, v18, v17
	v_cmp_ne_u32_e64 s0, 0, v6
	v_med3_i32 v9, v9, 0, 13
	s_delay_alu instid0(VALU_DEP_4) | instskip(NEXT) | instid1(VALU_DEP_4)
	v_and_b32_e32 v25, 7, v13
	v_lshlrev_b32_e32 v18, v18, v16
	s_wait_alu 0xf1ff
	v_cndmask_b32_e64 v6, 0, 1, s0
	v_lshrrev_b32_e32 v13, 2, v13
	v_cmp_lt_i32_e64 s0, 5, v25
	v_cmp_ne_u32_e64 s1, v18, v17
	s_delay_alu instid0(VALU_DEP_4) | instskip(SKIP_2) | instid1(VALU_DEP_3)
	v_and_or_b32 v6, 0xffe, v22, v6
	v_add_nc_u32_e32 v22, 0xfffffc10, v24
	s_wait_alu 0xf1ff
	v_cndmask_b32_e64 v17, 0, 1, s1
	v_cmp_eq_u32_e64 s1, 3, v25
	v_or_b32_e32 v18, 0x1000, v6
	v_lshl_or_b32 v24, v22, 12, v10
	s_delay_alu instid0(VALU_DEP_4) | instskip(NEXT) | instid1(VALU_DEP_4)
	v_or_b32_e32 v16, v16, v17
	s_or_b32 s0, s1, s0
	s_delay_alu instid0(VALU_DEP_3) | instskip(SKIP_3) | instid1(VALU_DEP_3)
	v_lshrrev_b32_e32 v17, v9, v18
	s_wait_alu 0xfffe
	v_add_co_ci_u32_e64 v13, s0, 0, v13, s0
	v_cmp_gt_i32_e64 s0, 1, v22
	v_lshlrev_b32_e32 v9, v9, v17
	s_wait_alu 0xf1ff
	s_delay_alu instid0(VALU_DEP_2) | instskip(SKIP_2) | instid1(VALU_DEP_1)
	v_cndmask_b32_e64 v16, v24, v16, s0
	v_cmp_ne_u32_e64 s0, 0, v0
	s_wait_alu 0xf1ff
	v_cndmask_b32_e64 v0, 0, 1, s0
	v_cmp_ne_u32_e64 s0, v9, v18
	v_add_nc_u32_e32 v18, 0xfffffc10, v23
	v_and_b32_e32 v23, 7, v16
	s_delay_alu instid0(VALU_DEP_4)
	v_lshl_or_b32 v0, v0, 9, 0x7c00
	s_wait_alu 0xf1ff
	v_cndmask_b32_e64 v9, 0, 1, s0
	v_cmp_gt_i32_e64 s0, 31, v14
	v_cmp_gt_i32_e64 s2, 1, v18
	v_cmp_eq_u32_e64 s1, 3, v23
	s_delay_alu instid0(VALU_DEP_4) | instskip(SKIP_4) | instid1(VALU_DEP_3)
	v_or_b32_e32 v9, v17, v9
	v_lshl_or_b32 v17, v18, 12, v6
	s_wait_alu 0xf1ff
	v_cndmask_b32_e64 v13, 0x7c00, v13, s0
	v_cmp_lt_i32_e64 s0, 5, v23
	v_cndmask_b32_e64 v9, v17, v9, s2
	v_cmp_eq_u32_e64 s2, 0x40f, v14
	s_delay_alu instid0(VALU_DEP_3) | instskip(NEXT) | instid1(VALU_DEP_2)
	s_or_b32 s0, s1, s0
	v_and_b32_e32 v14, 7, v9
	s_delay_alu instid0(VALU_DEP_2)
	v_cndmask_b32_e64 v0, v13, v0, s2
	v_lshrrev_b32_e32 v13, 2, v16
	v_lshrrev_b32_e32 v9, 2, v9
	v_cmp_gt_i32_e64 s2, 31, v22
	v_cmp_eq_u32_e64 s1, 3, v14
	v_and_or_b32 v0, 0x8000, v1, v0
	s_wait_alu 0xfffe
	v_add_co_ci_u32_e64 v13, s0, 0, v13, s0
	v_cmp_ne_u32_e64 s0, 0, v10
	v_and_b32_e32 v1, 0xffff, v8
	s_wait_alu 0xf1ff
	s_delay_alu instid0(VALU_DEP_3) | instskip(NEXT) | instid1(VALU_DEP_3)
	v_cndmask_b32_e64 v13, 0x7c00, v13, s2
	v_cndmask_b32_e64 v10, 0, 1, s0
	v_cmp_lt_i32_e64 s0, 5, v14
	s_delay_alu instid0(VALU_DEP_2) | instskip(NEXT) | instid1(VALU_DEP_2)
	v_lshl_or_b32 v10, v10, 9, 0x7c00
	s_or_b32 s0, s1, s0
	s_wait_alu 0xfffe
	v_add_co_ci_u32_e64 v9, s0, 0, v9, s0
	v_cmp_ne_u32_e64 s0, 0, v6
	s_wait_alu 0xf1ff
	s_delay_alu instid0(VALU_DEP_1) | instskip(SKIP_1) | instid1(VALU_DEP_2)
	v_cndmask_b32_e64 v6, 0, 1, s0
	v_cmp_eq_u32_e64 s0, 0x40f, v22
	v_lshl_or_b32 v6, v6, 9, 0x7c00
	s_wait_alu 0xf1ff
	s_delay_alu instid0(VALU_DEP_2) | instskip(SKIP_1) | instid1(VALU_DEP_2)
	v_cndmask_b32_e64 v10, v13, v10, s0
	v_cmp_gt_i32_e64 s0, 31, v18
	v_and_or_b32 v8, 0x8000, v11, v10
	s_wait_alu 0xf1ff
	s_delay_alu instid0(VALU_DEP_2)
	v_cndmask_b32_e64 v9, 0x7c00, v9, s0
	v_cmp_eq_u32_e64 s0, 0x40f, v18
	v_lshrrev_b32_e32 v10, 16, v7
	v_lshl_or_b32 v11, v0, 16, v1
	v_and_b32_e32 v1, 0xffff, v8
	s_wait_alu 0xf1ff
	v_cndmask_b32_e64 v9, v9, v6, s0
	v_add_co_u32 v6, s0, v2, s6
	s_wait_alu 0xf1ff
	v_add_co_ci_u32_e64 v7, s0, s7, v3, s0
	s_delay_alu instid0(VALU_DEP_3) | instskip(NEXT) | instid1(VALU_DEP_3)
	v_and_or_b32 v0, 0x8000, v10, v9
	v_add_co_u32 v8, s0, v6, s4
	s_wait_alu 0xf1ff
	s_delay_alu instid0(VALU_DEP_3) | instskip(NEXT) | instid1(VALU_DEP_3)
	v_add_co_ci_u32_e64 v9, s0, s5, v7, s0
	v_lshl_or_b32 v10, v0, 16, v1
	s_delay_alu instid0(VALU_DEP_3) | instskip(SKIP_1) | instid1(VALU_DEP_3)
	v_add_co_u32 v0, s0, v8, s6
	s_wait_alu 0xf1ff
	v_add_co_ci_u32_e64 v1, s0, s7, v9, s0
	global_store_b32 v[4:5], v19, off
	global_store_b32 v[2:3], v15, off
	;; [unrolled: 1-line block ×5, first 2 shown]
	s_and_b32 exec_lo, exec_lo, vcc_lo
	s_cbranch_execz .LBB0_31
; %bb.30:
	global_load_b32 v2, v[20:21], off offset:2080
	ds_load_b32 v3, v66 offset:2080
	ds_load_b32 v6, v66 offset:4264
	s_wait_dscnt 0x1
	v_lshrrev_b32_e32 v4, 16, v3
	s_wait_loadcnt 0x0
	v_lshrrev_b32_e32 v5, 16, v2
	s_delay_alu instid0(VALU_DEP_1) | instskip(SKIP_1) | instid1(VALU_DEP_2)
	v_mul_f16_e32 v7, v4, v5
	v_mul_f16_e32 v5, v3, v5
	v_fmac_f16_e32 v7, v3, v2
	s_delay_alu instid0(VALU_DEP_2) | instskip(NEXT) | instid1(VALU_DEP_2)
	v_fma_f16 v2, v2, v4, -v5
	v_cvt_f32_f16_e32 v3, v7
	s_delay_alu instid0(VALU_DEP_2) | instskip(NEXT) | instid1(VALU_DEP_2)
	v_cvt_f32_f16_e32 v4, v2
	v_cvt_f64_f32_e32 v[2:3], v3
	s_delay_alu instid0(VALU_DEP_2) | instskip(NEXT) | instid1(VALU_DEP_2)
	v_cvt_f64_f32_e32 v[4:5], v4
	v_mul_f64_e32 v[2:3], s[10:11], v[2:3]
	s_delay_alu instid0(VALU_DEP_2) | instskip(NEXT) | instid1(VALU_DEP_2)
	v_mul_f64_e32 v[4:5], s[10:11], v[4:5]
	v_and_or_b32 v2, 0x1ff, v3, v2
	s_delay_alu instid0(VALU_DEP_2)
	v_and_or_b32 v4, 0x1ff, v5, v4
	v_lshrrev_b32_e32 v7, 8, v3
	v_bfe_u32 v8, v3, 20, 11
	v_lshrrev_b32_e32 v9, 8, v5
	v_cmp_ne_u32_e32 vcc_lo, 0, v2
	v_bfe_u32 v10, v5, 20, 11
	v_lshrrev_b32_e32 v3, 16, v3
	v_sub_nc_u32_e32 v11, 0x3f1, v8
	v_lshrrev_b32_e32 v5, 16, v5
	s_wait_alu 0xfffd
	v_cndmask_b32_e64 v2, 0, 1, vcc_lo
	v_cmp_ne_u32_e32 vcc_lo, 0, v4
	s_delay_alu instid0(VALU_DEP_2) | instskip(SKIP_3) | instid1(VALU_DEP_2)
	v_and_or_b32 v2, 0xffe, v7, v2
	s_wait_alu 0xfffd
	v_cndmask_b32_e64 v4, 0, 1, vcc_lo
	v_sub_nc_u32_e32 v7, 0x3f1, v10
	v_and_or_b32 v4, 0xffe, v9, v4
	v_med3_i32 v9, v11, 0, 13
	v_or_b32_e32 v11, 0x1000, v2
	s_delay_alu instid0(VALU_DEP_4) | instskip(NEXT) | instid1(VALU_DEP_4)
	v_med3_i32 v7, v7, 0, 13
	v_or_b32_e32 v12, 0x1000, v4
	s_delay_alu instid0(VALU_DEP_3) | instskip(NEXT) | instid1(VALU_DEP_2)
	v_lshrrev_b32_e32 v13, v9, v11
	v_lshrrev_b32_e32 v14, v7, v12
	s_delay_alu instid0(VALU_DEP_2) | instskip(NEXT) | instid1(VALU_DEP_2)
	v_lshlrev_b32_e32 v9, v9, v13
	v_lshlrev_b32_e32 v7, v7, v14
	s_delay_alu instid0(VALU_DEP_2) | instskip(SKIP_2) | instid1(VALU_DEP_3)
	v_cmp_ne_u32_e32 vcc_lo, v9, v11
	s_wait_alu 0xfffd
	v_cndmask_b32_e64 v9, 0, 1, vcc_lo
	v_cmp_ne_u32_e32 vcc_lo, v7, v12
	s_delay_alu instid0(VALU_DEP_2) | instskip(SKIP_3) | instid1(VALU_DEP_2)
	v_or_b32_e32 v9, v13, v9
	v_add_nc_u32_e32 v8, 0xfffffc10, v8
	s_wait_alu 0xfffd
	v_cndmask_b32_e64 v7, 0, 1, vcc_lo
	v_lshl_or_b32 v11, v8, 12, v2
	s_delay_alu instid0(VALU_DEP_2) | instskip(SKIP_2) | instid1(VALU_DEP_2)
	v_or_b32_e32 v7, v14, v7
	v_add_nc_u32_e32 v10, 0xfffffc10, v10
	v_cmp_gt_i32_e32 vcc_lo, 1, v8
	v_lshl_or_b32 v12, v10, 12, v4
	s_wait_alu 0xfffd
	v_cndmask_b32_e32 v9, v11, v9, vcc_lo
	v_cmp_gt_i32_e32 vcc_lo, 1, v10
	s_wait_alu 0xfffd
	v_cndmask_b32_e32 v7, v12, v7, vcc_lo
	v_cmp_ne_u32_e32 vcc_lo, 0, v2
	s_wait_alu 0xfffd
	v_cndmask_b32_e64 v2, 0, 1, vcc_lo
	v_cmp_ne_u32_e32 vcc_lo, 0, v4
	s_delay_alu instid0(VALU_DEP_2) | instskip(SKIP_4) | instid1(VALU_DEP_3)
	v_lshl_or_b32 v2, v2, 9, 0x7c00
	v_and_b32_e32 v11, 7, v9
	s_wait_alu 0xfffd
	v_cndmask_b32_e64 v4, 0, 1, vcc_lo
	v_lshrrev_b32_e32 v9, 2, v9
	v_cmp_lt_i32_e32 vcc_lo, 5, v11
	v_cmp_eq_u32_e64 s0, 3, v11
	s_delay_alu instid0(VALU_DEP_4) | instskip(NEXT) | instid1(VALU_DEP_2)
	v_lshl_or_b32 v4, v4, 9, 0x7c00
	s_or_b32 vcc_lo, s0, vcc_lo
	s_wait_alu 0xfffe
	v_add_co_ci_u32_e32 v9, vcc_lo, 0, v9, vcc_lo
	v_and_b32_e32 v12, 7, v7
	v_lshrrev_b32_e32 v7, 2, v7
	s_delay_alu instid0(VALU_DEP_2) | instskip(SKIP_1) | instid1(VALU_DEP_1)
	v_cmp_lt_i32_e64 s1, 5, v12
	v_cmp_eq_u32_e64 s2, 3, v12
	s_or_b32 vcc_lo, s2, s1
	s_wait_alu 0xfffe
	v_add_co_ci_u32_e32 v7, vcc_lo, 0, v7, vcc_lo
	v_cmp_gt_i32_e32 vcc_lo, 31, v8
	s_wait_alu 0xfffd
	v_cndmask_b32_e32 v9, 0x7c00, v9, vcc_lo
	v_cmp_gt_i32_e32 vcc_lo, 31, v10
	s_wait_alu 0xfffd
	v_cndmask_b32_e32 v7, 0x7c00, v7, vcc_lo
	v_cmp_eq_u32_e32 vcc_lo, 0x40f, v8
	s_wait_alu 0xfffd
	v_cndmask_b32_e32 v2, v9, v2, vcc_lo
	v_cmp_eq_u32_e32 vcc_lo, 0x40f, v10
	s_delay_alu instid0(VALU_DEP_2)
	v_and_or_b32 v2, 0x8000, v3, v2
	s_wait_alu 0xfffd
	v_cndmask_b32_e32 v4, v7, v4, vcc_lo
	v_add_co_u32 v0, vcc_lo, v0, s4
	s_wait_alu 0xfffd
	v_add_co_ci_u32_e32 v1, vcc_lo, s5, v1, vcc_lo
	s_delay_alu instid0(VALU_DEP_3) | instskip(SKIP_1) | instid1(VALU_DEP_1)
	v_and_or_b32 v3, 0x8000, v5, v4
	v_and_b32_e32 v2, 0xffff, v2
	v_lshl_or_b32 v2, v3, 16, v2
	s_wait_dscnt 0x0
	v_lshrrev_b32_e32 v3, 16, v6
	global_store_b32 v[0:1], v2, off
	global_load_b32 v2, v[20:21], off offset:4264
	s_wait_loadcnt 0x0
	v_lshrrev_b32_e32 v4, 16, v2
	s_delay_alu instid0(VALU_DEP_1) | instskip(SKIP_1) | instid1(VALU_DEP_2)
	v_mul_f16_e32 v5, v3, v4
	v_mul_f16_e32 v4, v6, v4
	v_fmac_f16_e32 v5, v6, v2
	s_delay_alu instid0(VALU_DEP_2) | instskip(NEXT) | instid1(VALU_DEP_2)
	v_fma_f16 v2, v2, v3, -v4
	v_cvt_f32_f16_e32 v3, v5
	s_delay_alu instid0(VALU_DEP_2) | instskip(NEXT) | instid1(VALU_DEP_2)
	v_cvt_f32_f16_e32 v4, v2
	v_cvt_f64_f32_e32 v[2:3], v3
	s_delay_alu instid0(VALU_DEP_2) | instskip(NEXT) | instid1(VALU_DEP_2)
	v_cvt_f64_f32_e32 v[4:5], v4
	v_mul_f64_e32 v[2:3], s[10:11], v[2:3]
	s_delay_alu instid0(VALU_DEP_2) | instskip(NEXT) | instid1(VALU_DEP_2)
	v_mul_f64_e32 v[4:5], s[10:11], v[4:5]
	v_and_or_b32 v2, 0x1ff, v3, v2
	s_delay_alu instid0(VALU_DEP_2)
	v_and_or_b32 v4, 0x1ff, v5, v4
	v_lshrrev_b32_e32 v6, 8, v3
	v_bfe_u32 v7, v3, 20, 11
	v_lshrrev_b32_e32 v8, 8, v5
	v_cmp_ne_u32_e32 vcc_lo, 0, v2
	v_bfe_u32 v9, v5, 20, 11
	v_lshrrev_b32_e32 v3, 16, v3
	v_sub_nc_u32_e32 v10, 0x3f1, v7
	v_lshrrev_b32_e32 v5, 16, v5
	s_wait_alu 0xfffd
	v_cndmask_b32_e64 v2, 0, 1, vcc_lo
	v_cmp_ne_u32_e32 vcc_lo, 0, v4
	s_delay_alu instid0(VALU_DEP_2) | instskip(SKIP_4) | instid1(VALU_DEP_3)
	v_and_or_b32 v2, 0xffe, v6, v2
	s_wait_alu 0xfffd
	v_cndmask_b32_e64 v4, 0, 1, vcc_lo
	v_sub_nc_u32_e32 v6, 0x3f1, v9
	v_add_nc_u32_e32 v9, 0xfffffc10, v9
	v_and_or_b32 v4, 0xffe, v8, v4
	v_med3_i32 v8, v10, 0, 13
	v_or_b32_e32 v10, 0x1000, v2
	v_med3_i32 v6, v6, 0, 13
	s_delay_alu instid0(VALU_DEP_4) | instskip(NEXT) | instid1(VALU_DEP_3)
	v_or_b32_e32 v11, 0x1000, v4
	v_lshrrev_b32_e32 v12, v8, v10
	s_delay_alu instid0(VALU_DEP_2) | instskip(NEXT) | instid1(VALU_DEP_2)
	v_lshrrev_b32_e32 v13, v6, v11
	v_lshlrev_b32_e32 v8, v8, v12
	s_delay_alu instid0(VALU_DEP_2) | instskip(NEXT) | instid1(VALU_DEP_2)
	v_lshlrev_b32_e32 v6, v6, v13
	v_cmp_ne_u32_e32 vcc_lo, v8, v10
	s_wait_alu 0xfffd
	v_cndmask_b32_e64 v8, 0, 1, vcc_lo
	s_delay_alu instid0(VALU_DEP_3) | instskip(SKIP_1) | instid1(VALU_DEP_3)
	v_cmp_ne_u32_e32 vcc_lo, v6, v11
	v_lshl_or_b32 v11, v9, 12, v4
	v_or_b32_e32 v8, v12, v8
	s_wait_alu 0xfffd
	v_cndmask_b32_e64 v6, 0, 1, vcc_lo
	s_delay_alu instid0(VALU_DEP_1) | instskip(SKIP_1) | instid1(VALU_DEP_1)
	v_or_b32_e32 v6, v13, v6
	v_add_nc_u32_e32 v7, 0xfffffc10, v7
	v_lshl_or_b32 v10, v7, 12, v2
	v_cmp_gt_i32_e32 vcc_lo, 1, v7
	s_wait_alu 0xfffd
	s_delay_alu instid0(VALU_DEP_2) | instskip(SKIP_1) | instid1(VALU_DEP_2)
	v_cndmask_b32_e32 v8, v10, v8, vcc_lo
	v_cmp_gt_i32_e32 vcc_lo, 1, v9
	v_and_b32_e32 v10, 7, v8
	s_wait_alu 0xfffd
	v_cndmask_b32_e32 v6, v11, v6, vcc_lo
	v_cmp_ne_u32_e32 vcc_lo, 0, v2
	v_lshrrev_b32_e32 v8, 2, v8
	v_cmp_eq_u32_e64 s0, 3, v10
	s_wait_alu 0xfffd
	v_cndmask_b32_e64 v2, 0, 1, vcc_lo
	v_cmp_ne_u32_e32 vcc_lo, 0, v4
	s_delay_alu instid0(VALU_DEP_2) | instskip(SKIP_3) | instid1(VALU_DEP_2)
	v_lshl_or_b32 v2, v2, 9, 0x7c00
	s_wait_alu 0xfffd
	v_cndmask_b32_e64 v4, 0, 1, vcc_lo
	v_cmp_lt_i32_e32 vcc_lo, 5, v10
	v_lshl_or_b32 v4, v4, 9, 0x7c00
	s_or_b32 vcc_lo, s0, vcc_lo
	s_wait_alu 0xfffe
	v_add_co_ci_u32_e32 v8, vcc_lo, 0, v8, vcc_lo
	v_and_b32_e32 v11, 7, v6
	v_lshrrev_b32_e32 v6, 2, v6
	s_delay_alu instid0(VALU_DEP_2) | instskip(SKIP_1) | instid1(VALU_DEP_1)
	v_cmp_lt_i32_e64 s1, 5, v11
	v_cmp_eq_u32_e64 s2, 3, v11
	s_or_b32 vcc_lo, s2, s1
	s_wait_alu 0xfffe
	v_add_co_ci_u32_e32 v6, vcc_lo, 0, v6, vcc_lo
	v_cmp_gt_i32_e32 vcc_lo, 31, v7
	s_wait_alu 0xfffd
	v_cndmask_b32_e32 v8, 0x7c00, v8, vcc_lo
	v_cmp_gt_i32_e32 vcc_lo, 31, v9
	s_wait_alu 0xfffd
	v_cndmask_b32_e32 v6, 0x7c00, v6, vcc_lo
	v_cmp_eq_u32_e32 vcc_lo, 0x40f, v7
	s_wait_alu 0xfffd
	v_cndmask_b32_e32 v2, v8, v2, vcc_lo
	v_cmp_eq_u32_e32 vcc_lo, 0x40f, v9
	s_delay_alu instid0(VALU_DEP_2)
	v_and_or_b32 v2, 0x8000, v3, v2
	s_wait_alu 0xfffd
	v_cndmask_b32_e32 v4, v6, v4, vcc_lo
	v_add_co_u32 v0, vcc_lo, v0, s6
	s_wait_alu 0xfffd
	v_add_co_ci_u32_e32 v1, vcc_lo, s7, v1, vcc_lo
	s_delay_alu instid0(VALU_DEP_3) | instskip(SKIP_1) | instid1(VALU_DEP_1)
	v_and_or_b32 v3, 0x8000, v5, v4
	v_and_b32_e32 v2, 0xffff, v2
	v_lshl_or_b32 v2, v3, 16, v2
	global_store_b32 v[0:1], v2, off
.LBB0_31:
	s_nop 0
	s_sendmsg sendmsg(MSG_DEALLOC_VGPRS)
	s_endpgm
	.section	.rodata,"a",@progbits
	.p2align	6, 0x0
	.amdhsa_kernel bluestein_single_back_len1092_dim1_half_op_CI_CI
		.amdhsa_group_segment_fixed_size 4368
		.amdhsa_private_segment_fixed_size 0
		.amdhsa_kernarg_size 104
		.amdhsa_user_sgpr_count 2
		.amdhsa_user_sgpr_dispatch_ptr 0
		.amdhsa_user_sgpr_queue_ptr 0
		.amdhsa_user_sgpr_kernarg_segment_ptr 1
		.amdhsa_user_sgpr_dispatch_id 0
		.amdhsa_user_sgpr_private_segment_size 0
		.amdhsa_wavefront_size32 1
		.amdhsa_uses_dynamic_stack 0
		.amdhsa_enable_private_segment 0
		.amdhsa_system_sgpr_workgroup_id_x 1
		.amdhsa_system_sgpr_workgroup_id_y 0
		.amdhsa_system_sgpr_workgroup_id_z 0
		.amdhsa_system_sgpr_workgroup_info 0
		.amdhsa_system_vgpr_workitem_id 0
		.amdhsa_next_free_vgpr 249
		.amdhsa_next_free_sgpr 18
		.amdhsa_reserve_vcc 1
		.amdhsa_float_round_mode_32 0
		.amdhsa_float_round_mode_16_64 0
		.amdhsa_float_denorm_mode_32 3
		.amdhsa_float_denorm_mode_16_64 3
		.amdhsa_fp16_overflow 0
		.amdhsa_workgroup_processor_mode 1
		.amdhsa_memory_ordered 1
		.amdhsa_forward_progress 0
		.amdhsa_round_robin_scheduling 0
		.amdhsa_exception_fp_ieee_invalid_op 0
		.amdhsa_exception_fp_denorm_src 0
		.amdhsa_exception_fp_ieee_div_zero 0
		.amdhsa_exception_fp_ieee_overflow 0
		.amdhsa_exception_fp_ieee_underflow 0
		.amdhsa_exception_fp_ieee_inexact 0
		.amdhsa_exception_int_div_zero 0
	.end_amdhsa_kernel
	.text
.Lfunc_end0:
	.size	bluestein_single_back_len1092_dim1_half_op_CI_CI, .Lfunc_end0-bluestein_single_back_len1092_dim1_half_op_CI_CI
                                        ; -- End function
	.section	.AMDGPU.csdata,"",@progbits
; Kernel info:
; codeLenInByte = 50852
; NumSgprs: 20
; NumVgprs: 249
; ScratchSize: 0
; MemoryBound: 0
; FloatMode: 240
; IeeeMode: 1
; LDSByteSize: 4368 bytes/workgroup (compile time only)
; SGPRBlocks: 2
; VGPRBlocks: 31
; NumSGPRsForWavesPerEU: 20
; NumVGPRsForWavesPerEU: 249
; Occupancy: 5
; WaveLimiterHint : 1
; COMPUTE_PGM_RSRC2:SCRATCH_EN: 0
; COMPUTE_PGM_RSRC2:USER_SGPR: 2
; COMPUTE_PGM_RSRC2:TRAP_HANDLER: 0
; COMPUTE_PGM_RSRC2:TGID_X_EN: 1
; COMPUTE_PGM_RSRC2:TGID_Y_EN: 0
; COMPUTE_PGM_RSRC2:TGID_Z_EN: 0
; COMPUTE_PGM_RSRC2:TIDIG_COMP_CNT: 0
	.text
	.p2alignl 7, 3214868480
	.fill 96, 4, 3214868480
	.type	__hip_cuid_4090aadc465d0798,@object ; @__hip_cuid_4090aadc465d0798
	.section	.bss,"aw",@nobits
	.globl	__hip_cuid_4090aadc465d0798
__hip_cuid_4090aadc465d0798:
	.byte	0                               ; 0x0
	.size	__hip_cuid_4090aadc465d0798, 1

	.ident	"AMD clang version 19.0.0git (https://github.com/RadeonOpenCompute/llvm-project roc-6.4.0 25133 c7fe45cf4b819c5991fe208aaa96edf142730f1d)"
	.section	".note.GNU-stack","",@progbits
	.addrsig
	.addrsig_sym __hip_cuid_4090aadc465d0798
	.amdgpu_metadata
---
amdhsa.kernels:
  - .args:
      - .actual_access:  read_only
        .address_space:  global
        .offset:         0
        .size:           8
        .value_kind:     global_buffer
      - .actual_access:  read_only
        .address_space:  global
        .offset:         8
        .size:           8
        .value_kind:     global_buffer
      - .actual_access:  read_only
        .address_space:  global
        .offset:         16
        .size:           8
        .value_kind:     global_buffer
      - .actual_access:  read_only
        .address_space:  global
        .offset:         24
        .size:           8
        .value_kind:     global_buffer
      - .actual_access:  read_only
        .address_space:  global
        .offset:         32
        .size:           8
        .value_kind:     global_buffer
      - .offset:         40
        .size:           8
        .value_kind:     by_value
      - .address_space:  global
        .offset:         48
        .size:           8
        .value_kind:     global_buffer
      - .address_space:  global
        .offset:         56
        .size:           8
        .value_kind:     global_buffer
      - .address_space:  global
        .offset:         64
        .size:           8
        .value_kind:     global_buffer
      - .address_space:  global
        .offset:         72
        .size:           8
        .value_kind:     global_buffer
      - .offset:         80
        .size:           4
        .value_kind:     by_value
      - .address_space:  global
        .offset:         88
        .size:           8
        .value_kind:     global_buffer
      - .address_space:  global
        .offset:         96
        .size:           8
        .value_kind:     global_buffer
    .group_segment_fixed_size: 4368
    .kernarg_segment_align: 8
    .kernarg_segment_size: 104
    .language:       OpenCL C
    .language_version:
      - 2
      - 0
    .max_flat_workgroup_size: 52
    .name:           bluestein_single_back_len1092_dim1_half_op_CI_CI
    .private_segment_fixed_size: 0
    .sgpr_count:     20
    .sgpr_spill_count: 0
    .symbol:         bluestein_single_back_len1092_dim1_half_op_CI_CI.kd
    .uniform_work_group_size: 1
    .uses_dynamic_stack: false
    .vgpr_count:     249
    .vgpr_spill_count: 0
    .wavefront_size: 32
    .workgroup_processor_mode: 1
amdhsa.target:   amdgcn-amd-amdhsa--gfx1201
amdhsa.version:
  - 1
  - 2
...

	.end_amdgpu_metadata
